;; amdgpu-corpus repo=ROCm/rocFFT kind=compiled arch=gfx1201 opt=O3
	.text
	.amdgcn_target "amdgcn-amd-amdhsa--gfx1201"
	.amdhsa_code_object_version 6
	.protected	fft_rtc_back_len1620_factors_10_3_3_6_3_wgs_162_tpt_162_halfLds_half_op_CI_CI_unitstride_sbrr_R2C_dirReg ; -- Begin function fft_rtc_back_len1620_factors_10_3_3_6_3_wgs_162_tpt_162_halfLds_half_op_CI_CI_unitstride_sbrr_R2C_dirReg
	.globl	fft_rtc_back_len1620_factors_10_3_3_6_3_wgs_162_tpt_162_halfLds_half_op_CI_CI_unitstride_sbrr_R2C_dirReg
	.p2align	8
	.type	fft_rtc_back_len1620_factors_10_3_3_6_3_wgs_162_tpt_162_halfLds_half_op_CI_CI_unitstride_sbrr_R2C_dirReg,@function
fft_rtc_back_len1620_factors_10_3_3_6_3_wgs_162_tpt_162_halfLds_half_op_CI_CI_unitstride_sbrr_R2C_dirReg: ; @fft_rtc_back_len1620_factors_10_3_3_6_3_wgs_162_tpt_162_halfLds_half_op_CI_CI_unitstride_sbrr_R2C_dirReg
; %bb.0:
	s_clause 0x2
	s_load_b128 s[8:11], s[0:1], 0x0
	s_load_b128 s[4:7], s[0:1], 0x58
	;; [unrolled: 1-line block ×3, first 2 shown]
	v_mul_u32_u24_e32 v1, 0x195, v0
	v_mov_b32_e32 v3, 0
	v_mov_b32_e32 v11, 0
	;; [unrolled: 1-line block ×3, first 2 shown]
	s_delay_alu instid0(VALU_DEP_4) | instskip(NEXT) | instid1(VALU_DEP_1)
	v_lshrrev_b32_e32 v1, 16, v1
	v_dual_mov_b32 v8, v3 :: v_dual_add_nc_u32 v7, ttmp9, v1
	s_wait_kmcnt 0x0
	v_cmp_lt_u64_e64 s2, s[10:11], 2
	s_delay_alu instid0(VALU_DEP_1)
	s_and_b32 vcc_lo, exec_lo, s2
	s_cbranch_vccnz .LBB0_8
; %bb.1:
	s_load_b64 s[2:3], s[0:1], 0x10
	v_mov_b32_e32 v11, 0
	v_mov_b32_e32 v12, 0
	s_delay_alu instid0(VALU_DEP_2)
	v_mov_b32_e32 v1, v11
	s_add_nc_u64 s[16:17], s[14:15], 8
	s_add_nc_u64 s[18:19], s[12:13], 8
	s_mov_b64 s[20:21], 1
	v_mov_b32_e32 v2, v12
	s_wait_kmcnt 0x0
	s_add_nc_u64 s[22:23], s[2:3], 8
	s_mov_b32 s3, 0
.LBB0_2:                                ; =>This Inner Loop Header: Depth=1
	s_load_b64 s[24:25], s[22:23], 0x0
                                        ; implicit-def: $vgpr5_vgpr6
	s_mov_b32 s2, exec_lo
	s_wait_kmcnt 0x0
	v_or_b32_e32 v4, s25, v8
	s_delay_alu instid0(VALU_DEP_1)
	v_cmpx_ne_u64_e32 0, v[3:4]
	s_wait_alu 0xfffe
	s_xor_b32 s26, exec_lo, s2
	s_cbranch_execz .LBB0_4
; %bb.3:                                ;   in Loop: Header=BB0_2 Depth=1
	s_cvt_f32_u32 s2, s24
	s_cvt_f32_u32 s27, s25
	s_sub_nc_u64 s[30:31], 0, s[24:25]
	s_wait_alu 0xfffe
	s_delay_alu instid0(SALU_CYCLE_1) | instskip(SKIP_1) | instid1(SALU_CYCLE_2)
	s_fmamk_f32 s2, s27, 0x4f800000, s2
	s_wait_alu 0xfffe
	v_s_rcp_f32 s2, s2
	s_delay_alu instid0(TRANS32_DEP_1) | instskip(SKIP_1) | instid1(SALU_CYCLE_2)
	s_mul_f32 s2, s2, 0x5f7ffffc
	s_wait_alu 0xfffe
	s_mul_f32 s27, s2, 0x2f800000
	s_wait_alu 0xfffe
	s_delay_alu instid0(SALU_CYCLE_2) | instskip(SKIP_1) | instid1(SALU_CYCLE_2)
	s_trunc_f32 s27, s27
	s_wait_alu 0xfffe
	s_fmamk_f32 s2, s27, 0xcf800000, s2
	s_cvt_u32_f32 s29, s27
	s_wait_alu 0xfffe
	s_delay_alu instid0(SALU_CYCLE_1) | instskip(SKIP_1) | instid1(SALU_CYCLE_2)
	s_cvt_u32_f32 s28, s2
	s_wait_alu 0xfffe
	s_mul_u64 s[34:35], s[30:31], s[28:29]
	s_wait_alu 0xfffe
	s_mul_hi_u32 s37, s28, s35
	s_mul_i32 s36, s28, s35
	s_mul_hi_u32 s2, s28, s34
	s_mul_i32 s33, s29, s34
	s_wait_alu 0xfffe
	s_add_nc_u64 s[36:37], s[2:3], s[36:37]
	s_mul_hi_u32 s27, s29, s34
	s_mul_hi_u32 s38, s29, s35
	s_add_co_u32 s2, s36, s33
	s_wait_alu 0xfffe
	s_add_co_ci_u32 s2, s37, s27
	s_mul_i32 s34, s29, s35
	s_add_co_ci_u32 s35, s38, 0
	s_wait_alu 0xfffe
	s_add_nc_u64 s[34:35], s[2:3], s[34:35]
	s_wait_alu 0xfffe
	v_add_co_u32 v4, s2, s28, s34
	s_delay_alu instid0(VALU_DEP_1) | instskip(SKIP_1) | instid1(VALU_DEP_1)
	s_cmp_lg_u32 s2, 0
	s_add_co_ci_u32 s29, s29, s35
	v_readfirstlane_b32 s28, v4
	s_wait_alu 0xfffe
	s_delay_alu instid0(VALU_DEP_1)
	s_mul_u64 s[30:31], s[30:31], s[28:29]
	s_wait_alu 0xfffe
	s_mul_hi_u32 s35, s28, s31
	s_mul_i32 s34, s28, s31
	s_mul_hi_u32 s2, s28, s30
	s_mul_i32 s33, s29, s30
	s_wait_alu 0xfffe
	s_add_nc_u64 s[34:35], s[2:3], s[34:35]
	s_mul_hi_u32 s27, s29, s30
	s_mul_hi_u32 s28, s29, s31
	s_wait_alu 0xfffe
	s_add_co_u32 s2, s34, s33
	s_add_co_ci_u32 s2, s35, s27
	s_mul_i32 s30, s29, s31
	s_add_co_ci_u32 s31, s28, 0
	s_wait_alu 0xfffe
	s_add_nc_u64 s[30:31], s[2:3], s[30:31]
	s_wait_alu 0xfffe
	v_add_co_u32 v6, s2, v4, s30
	s_delay_alu instid0(VALU_DEP_1) | instskip(SKIP_1) | instid1(VALU_DEP_1)
	s_cmp_lg_u32 s2, 0
	s_add_co_ci_u32 s2, s29, s31
	v_mul_hi_u32 v15, v7, v6
	s_wait_alu 0xfffe
	v_mad_co_u64_u32 v[4:5], null, v7, s2, 0
	v_mad_co_u64_u32 v[9:10], null, v8, v6, 0
	;; [unrolled: 1-line block ×3, first 2 shown]
	s_delay_alu instid0(VALU_DEP_3) | instskip(SKIP_1) | instid1(VALU_DEP_4)
	v_add_co_u32 v4, vcc_lo, v15, v4
	s_wait_alu 0xfffd
	v_add_co_ci_u32_e32 v5, vcc_lo, 0, v5, vcc_lo
	s_delay_alu instid0(VALU_DEP_2) | instskip(SKIP_1) | instid1(VALU_DEP_2)
	v_add_co_u32 v4, vcc_lo, v4, v9
	s_wait_alu 0xfffd
	v_add_co_ci_u32_e32 v4, vcc_lo, v5, v10, vcc_lo
	s_wait_alu 0xfffd
	v_add_co_ci_u32_e32 v5, vcc_lo, 0, v14, vcc_lo
	s_delay_alu instid0(VALU_DEP_2) | instskip(SKIP_1) | instid1(VALU_DEP_2)
	v_add_co_u32 v9, vcc_lo, v4, v13
	s_wait_alu 0xfffd
	v_add_co_ci_u32_e32 v6, vcc_lo, 0, v5, vcc_lo
	s_delay_alu instid0(VALU_DEP_2) | instskip(SKIP_1) | instid1(VALU_DEP_3)
	v_mul_lo_u32 v10, s25, v9
	v_mad_co_u64_u32 v[4:5], null, s24, v9, 0
	v_mul_lo_u32 v13, s24, v6
	s_delay_alu instid0(VALU_DEP_2) | instskip(NEXT) | instid1(VALU_DEP_2)
	v_sub_co_u32 v4, vcc_lo, v7, v4
	v_add3_u32 v5, v5, v13, v10
	s_delay_alu instid0(VALU_DEP_1) | instskip(SKIP_1) | instid1(VALU_DEP_1)
	v_sub_nc_u32_e32 v10, v8, v5
	s_wait_alu 0xfffd
	v_subrev_co_ci_u32_e64 v10, s2, s25, v10, vcc_lo
	v_add_co_u32 v13, s2, v9, 2
	s_wait_alu 0xf1ff
	v_add_co_ci_u32_e64 v14, s2, 0, v6, s2
	v_sub_co_u32 v15, s2, v4, s24
	v_sub_co_ci_u32_e32 v5, vcc_lo, v8, v5, vcc_lo
	s_wait_alu 0xf1ff
	v_subrev_co_ci_u32_e64 v10, s2, 0, v10, s2
	s_delay_alu instid0(VALU_DEP_3) | instskip(NEXT) | instid1(VALU_DEP_3)
	v_cmp_le_u32_e32 vcc_lo, s24, v15
	v_cmp_eq_u32_e64 s2, s25, v5
	s_wait_alu 0xfffd
	v_cndmask_b32_e64 v15, 0, -1, vcc_lo
	v_cmp_le_u32_e32 vcc_lo, s25, v10
	s_wait_alu 0xfffd
	v_cndmask_b32_e64 v16, 0, -1, vcc_lo
	v_cmp_le_u32_e32 vcc_lo, s24, v4
	;; [unrolled: 3-line block ×3, first 2 shown]
	s_wait_alu 0xfffd
	v_cndmask_b32_e64 v17, 0, -1, vcc_lo
	v_cmp_eq_u32_e32 vcc_lo, s25, v10
	s_wait_alu 0xf1ff
	s_delay_alu instid0(VALU_DEP_2)
	v_cndmask_b32_e64 v4, v17, v4, s2
	s_wait_alu 0xfffd
	v_cndmask_b32_e32 v10, v16, v15, vcc_lo
	v_add_co_u32 v15, vcc_lo, v9, 1
	s_wait_alu 0xfffd
	v_add_co_ci_u32_e32 v16, vcc_lo, 0, v6, vcc_lo
	s_delay_alu instid0(VALU_DEP_3) | instskip(SKIP_1) | instid1(VALU_DEP_2)
	v_cmp_ne_u32_e32 vcc_lo, 0, v10
	s_wait_alu 0xfffd
	v_dual_cndmask_b32 v5, v16, v14 :: v_dual_cndmask_b32 v10, v15, v13
	v_cmp_ne_u32_e32 vcc_lo, 0, v4
	s_wait_alu 0xfffd
	s_delay_alu instid0(VALU_DEP_2)
	v_dual_cndmask_b32 v6, v6, v5 :: v_dual_cndmask_b32 v5, v9, v10
.LBB0_4:                                ;   in Loop: Header=BB0_2 Depth=1
	s_wait_alu 0xfffe
	s_and_not1_saveexec_b32 s2, s26
	s_cbranch_execz .LBB0_6
; %bb.5:                                ;   in Loop: Header=BB0_2 Depth=1
	v_cvt_f32_u32_e32 v4, s24
	s_sub_co_i32 s26, 0, s24
	s_delay_alu instid0(VALU_DEP_1) | instskip(NEXT) | instid1(TRANS32_DEP_1)
	v_rcp_iflag_f32_e32 v4, v4
	v_mul_f32_e32 v4, 0x4f7ffffe, v4
	s_delay_alu instid0(VALU_DEP_1) | instskip(SKIP_1) | instid1(VALU_DEP_1)
	v_cvt_u32_f32_e32 v4, v4
	s_wait_alu 0xfffe
	v_mul_lo_u32 v5, s26, v4
	s_delay_alu instid0(VALU_DEP_1) | instskip(NEXT) | instid1(VALU_DEP_1)
	v_mul_hi_u32 v5, v4, v5
	v_add_nc_u32_e32 v4, v4, v5
	s_delay_alu instid0(VALU_DEP_1) | instskip(NEXT) | instid1(VALU_DEP_1)
	v_mul_hi_u32 v4, v7, v4
	v_mul_lo_u32 v5, v4, s24
	v_add_nc_u32_e32 v6, 1, v4
	s_delay_alu instid0(VALU_DEP_2) | instskip(NEXT) | instid1(VALU_DEP_1)
	v_sub_nc_u32_e32 v5, v7, v5
	v_subrev_nc_u32_e32 v9, s24, v5
	v_cmp_le_u32_e32 vcc_lo, s24, v5
	s_wait_alu 0xfffd
	s_delay_alu instid0(VALU_DEP_2) | instskip(NEXT) | instid1(VALU_DEP_1)
	v_dual_cndmask_b32 v5, v5, v9 :: v_dual_cndmask_b32 v4, v4, v6
	v_cmp_le_u32_e32 vcc_lo, s24, v5
	s_delay_alu instid0(VALU_DEP_2) | instskip(SKIP_1) | instid1(VALU_DEP_1)
	v_add_nc_u32_e32 v6, 1, v4
	s_wait_alu 0xfffd
	v_dual_cndmask_b32 v5, v4, v6 :: v_dual_mov_b32 v6, v3
.LBB0_6:                                ;   in Loop: Header=BB0_2 Depth=1
	s_wait_alu 0xfffe
	s_or_b32 exec_lo, exec_lo, s2
	s_delay_alu instid0(VALU_DEP_1) | instskip(NEXT) | instid1(VALU_DEP_2)
	v_mul_lo_u32 v4, v6, s24
	v_mul_lo_u32 v13, v5, s25
	s_load_b64 s[26:27], s[18:19], 0x0
	v_mad_co_u64_u32 v[9:10], null, v5, s24, 0
	s_load_b64 s[24:25], s[16:17], 0x0
	s_add_nc_u64 s[20:21], s[20:21], 1
	s_add_nc_u64 s[16:17], s[16:17], 8
	s_wait_alu 0xfffe
	v_cmp_ge_u64_e64 s2, s[20:21], s[10:11]
	s_add_nc_u64 s[18:19], s[18:19], 8
	s_add_nc_u64 s[22:23], s[22:23], 8
	v_add3_u32 v4, v10, v13, v4
	v_sub_co_u32 v7, vcc_lo, v7, v9
	s_wait_alu 0xfffd
	s_delay_alu instid0(VALU_DEP_2) | instskip(SKIP_2) | instid1(VALU_DEP_1)
	v_sub_co_ci_u32_e32 v4, vcc_lo, v8, v4, vcc_lo
	s_and_b32 vcc_lo, exec_lo, s2
	s_wait_kmcnt 0x0
	v_mul_lo_u32 v8, s26, v4
	v_mul_lo_u32 v9, s27, v7
	v_mad_co_u64_u32 v[11:12], null, s26, v7, v[11:12]
	v_mul_lo_u32 v4, s24, v4
	v_mul_lo_u32 v10, s25, v7
	v_mad_co_u64_u32 v[1:2], null, s24, v7, v[1:2]
	s_delay_alu instid0(VALU_DEP_4) | instskip(NEXT) | instid1(VALU_DEP_2)
	v_add3_u32 v12, v9, v12, v8
	v_add3_u32 v2, v10, v2, v4
	s_wait_alu 0xfffe
	s_cbranch_vccnz .LBB0_9
; %bb.7:                                ;   in Loop: Header=BB0_2 Depth=1
	v_dual_mov_b32 v8, v6 :: v_dual_mov_b32 v7, v5
	s_branch .LBB0_2
.LBB0_8:
	v_dual_mov_b32 v1, v11 :: v_dual_mov_b32 v2, v12
	v_dual_mov_b32 v5, v7 :: v_dual_mov_b32 v6, v8
.LBB0_9:
	s_load_b64 s[0:1], s[0:1], 0x28
	v_mul_hi_u32 v4, 0x1948b10, v0
	s_lshl_b64 s[10:11], s[10:11], 3
                                        ; implicit-def: $vgpr3
                                        ; implicit-def: $vgpr7
                                        ; implicit-def: $vgpr10
                                        ; implicit-def: $vgpr9
	s_wait_kmcnt 0x0
	v_cmp_gt_u64_e32 vcc_lo, s[0:1], v[5:6]
	v_cmp_le_u64_e64 s0, s[0:1], v[5:6]
	s_delay_alu instid0(VALU_DEP_1)
	s_and_saveexec_b32 s1, s0
	s_wait_alu 0xfffe
	s_xor_b32 s0, exec_lo, s1
; %bb.10:
	v_mul_u32_u24_e32 v3, 0xa2, v4
                                        ; implicit-def: $vgpr4
                                        ; implicit-def: $vgpr11_vgpr12
	s_delay_alu instid0(VALU_DEP_1) | instskip(NEXT) | instid1(VALU_DEP_1)
	v_sub_nc_u32_e32 v3, v0, v3
                                        ; implicit-def: $vgpr0
	v_add_nc_u32_e32 v7, 0xa2, v3
	v_add_nc_u32_e32 v10, 0x144, v3
	;; [unrolled: 1-line block ×3, first 2 shown]
; %bb.11:
	s_wait_alu 0xfffe
	s_or_saveexec_b32 s1, s0
	s_add_nc_u64 s[2:3], s[14:15], s[10:11]
	s_wait_alu 0xfffe
	s_xor_b32 exec_lo, exec_lo, s1
	s_cbranch_execz .LBB0_13
; %bb.12:
	s_add_nc_u64 s[10:11], s[12:13], s[10:11]
	s_load_b64 s[10:11], s[10:11], 0x0
	s_wait_kmcnt 0x0
	v_mul_lo_u32 v3, s11, v5
	v_mul_lo_u32 v9, s10, v6
	v_mad_co_u64_u32 v[7:8], null, s10, v5, 0
	s_delay_alu instid0(VALU_DEP_1) | instskip(SKIP_2) | instid1(VALU_DEP_3)
	v_add3_u32 v8, v8, v9, v3
	v_mul_u32_u24_e32 v3, 0xa2, v4
	v_lshlrev_b64_e32 v[9:10], 2, v[11:12]
	v_lshlrev_b64_e32 v[7:8], 2, v[7:8]
	s_delay_alu instid0(VALU_DEP_3) | instskip(NEXT) | instid1(VALU_DEP_1)
	v_sub_nc_u32_e32 v3, v0, v3
	v_lshlrev_b32_e32 v11, 2, v3
	s_delay_alu instid0(VALU_DEP_3) | instskip(SKIP_1) | instid1(VALU_DEP_4)
	v_add_co_u32 v0, s0, s4, v7
	s_wait_alu 0xf1ff
	v_add_co_ci_u32_e64 v4, s0, s5, v8, s0
	s_delay_alu instid0(VALU_DEP_2) | instskip(SKIP_1) | instid1(VALU_DEP_2)
	v_add_co_u32 v0, s0, v0, v9
	s_wait_alu 0xf1ff
	v_add_co_ci_u32_e64 v4, s0, v4, v10, s0
	v_add_nc_u32_e32 v10, 0x144, v3
	s_delay_alu instid0(VALU_DEP_3) | instskip(SKIP_1) | instid1(VALU_DEP_3)
	v_add_co_u32 v7, s0, v0, v11
	s_wait_alu 0xf1ff
	v_add_co_ci_u32_e64 v8, s0, 0, v4, s0
	s_clause 0x9
	global_load_b32 v0, v[7:8], off
	global_load_b32 v4, v[7:8], off offset:648
	global_load_b32 v12, v[7:8], off offset:1296
	;; [unrolled: 1-line block ×9, first 2 shown]
	v_add_nc_u32_e32 v11, 0, v11
	v_add_nc_u32_e32 v7, 0xa2, v3
	;; [unrolled: 1-line block ×3, first 2 shown]
	s_delay_alu instid0(VALU_DEP_3)
	v_add_nc_u32_e32 v19, 0x400, v11
	v_add_nc_u32_e32 v20, 0xa00, v11
	;; [unrolled: 1-line block ×4, first 2 shown]
	s_wait_loadcnt 0x8
	ds_store_2addr_b32 v11, v0, v4 offset1:162
	s_wait_loadcnt 0x6
	ds_store_2addr_b32 v19, v12, v13 offset0:68 offset1:230
	s_wait_loadcnt 0x4
	ds_store_2addr_b32 v20, v14, v15 offset0:8 offset1:170
	;; [unrolled: 2-line block ×4, first 2 shown]
.LBB0_13:
	s_or_b32 exec_lo, exec_lo, s1
	v_lshl_add_u32 v0, v3, 2, 0
	s_load_b64 s[4:5], s[2:3], 0x0
	global_wb scope:SCOPE_SE
	s_wait_dscnt 0x0
	s_wait_kmcnt 0x0
	s_barrier_signal -1
	s_barrier_wait -1
	v_add_nc_u32_e32 v4, 0xa00, v0
	v_add_nc_u32_e32 v8, 0xe00, v0
	;; [unrolled: 1-line block ×4, first 2 shown]
	global_inv scope:SCOPE_SE
	ds_load_2addr_b32 v[11:12], v0 offset1:162
	ds_load_2addr_b32 v[13:14], v4 offset0:8 offset1:170
	ds_load_2addr_b32 v[15:16], v8 offset0:76 offset1:238
	;; [unrolled: 1-line block ×4, first 2 shown]
	v_mad_u32_u24 v4, v3, 36, v0
	global_wb scope:SCOPE_SE
	s_wait_dscnt 0x0
	s_barrier_signal -1
	s_barrier_wait -1
	global_inv scope:SCOPE_SE
	v_cmp_gt_u32_e64 s0, 54, v3
	v_lshrrev_b32_e32 v8, 16, v11
	v_lshrrev_b32_e32 v24, 16, v13
	v_add_f16_e32 v21, v13, v15
	v_lshrrev_b32_e32 v22, 16, v17
	v_lshrrev_b32_e32 v23, 16, v19
	;; [unrolled: 1-line block ×3, first 2 shown]
	v_sub_f16_e32 v26, v19, v15
	v_sub_f16_e32 v27, v17, v13
	v_add_f16_e32 v28, v17, v19
	v_sub_f16_e32 v29, v15, v19
	v_sub_f16_e32 v30, v13, v17
	v_fma_f16 v21, -0.5, v21, v11
	v_sub_f16_e32 v33, v22, v23
	v_pk_add_f16 v31, v11, v17
	v_sub_f16_e32 v34, v24, v25
	v_add_f16_e32 v26, v27, v26
	v_fma_f16 v11, -0.5, v28, v11
	v_add_f16_e32 v27, v30, v29
	v_add_f16_e32 v28, v24, v25
	v_fmamk_f16 v29, v33, 0xbb9c, v21
	v_fmac_f16_e32 v21, 0x3b9c, v33
	v_sub_f16_e32 v17, v17, v19
	v_sub_f16_e32 v32, v13, v15
	v_fma_f16 v28, -0.5, v28, v8
	v_fmac_f16_e32 v29, 0xb8b4, v34
	v_fmac_f16_e32 v21, 0x38b4, v34
	v_pk_add_f16 v13, v31, v13
	v_fmamk_f16 v30, v34, 0x3b9c, v11
	v_sub_f16_e32 v31, v22, v24
	v_fmac_f16_e32 v11, 0xbb9c, v34
	v_fmamk_f16 v34, v17, 0x3b9c, v28
	v_fmac_f16_e32 v29, 0x34f2, v26
	v_fmac_f16_e32 v21, 0x34f2, v26
	v_sub_f16_e32 v26, v23, v25
	v_fmac_f16_e32 v28, 0xbb9c, v17
	v_pk_add_f16 v13, v13, v15
	v_fmac_f16_e32 v34, 0x38b4, v32
	v_fmac_f16_e32 v30, 0xb8b4, v33
	v_add_f16_e32 v15, v31, v26
	v_add_f16_e32 v26, v22, v23
	v_fmac_f16_e32 v28, 0xb8b4, v32
	v_pk_add_f16 v13, v13, v19
	v_lshrrev_b32_e32 v19, 16, v18
	v_fmac_f16_e32 v34, 0x34f2, v15
	v_fmac_f16_e32 v8, -0.5, v26
	v_fmac_f16_e32 v28, 0x34f2, v15
	v_add_f16_e32 v15, v14, v16
	v_lshrrev_b32_e32 v26, 16, v20
	v_fmac_f16_e32 v11, 0x38b4, v33
	v_sub_f16_e32 v22, v24, v22
	v_sub_f16_e32 v23, v25, v23
	v_fma_f16 v15, -0.5, v15, v12
	v_sub_f16_e32 v24, v19, v26
	v_lshrrev_b32_e32 v25, 16, v14
	v_lshrrev_b32_e32 v31, 16, v16
	v_fmac_f16_e32 v30, 0x34f2, v27
	v_fmac_f16_e32 v11, 0x34f2, v27
	v_fmamk_f16 v27, v32, 0xbb9c, v8
	v_add_f16_e32 v22, v22, v23
	v_fmac_f16_e32 v8, 0x3b9c, v32
	v_fmamk_f16 v23, v24, 0xbb9c, v15
	v_sub_f16_e32 v32, v25, v31
	v_sub_f16_e32 v33, v20, v16
	v_sub_f16_e32 v35, v18, v14
	v_fmac_f16_e32 v15, 0x3b9c, v24
	v_add_f16_e32 v36, v18, v20
	v_fmac_f16_e32 v27, 0x38b4, v17
	v_fmac_f16_e32 v8, 0xb8b4, v17
	;; [unrolled: 1-line block ×3, first 2 shown]
	v_add_f16_e32 v17, v35, v33
	v_fmac_f16_e32 v15, 0x38b4, v32
	v_fma_f16 v33, -0.5, v36, v12
	v_fmac_f16_e32 v27, 0x34f2, v22
	v_fmac_f16_e32 v8, 0x34f2, v22
	;; [unrolled: 1-line block ×4, first 2 shown]
	v_fmamk_f16 v17, v32, 0x3b9c, v33
	v_sub_f16_e32 v22, v16, v20
	v_sub_f16_e32 v35, v14, v18
	v_fmac_f16_e32 v33, 0xbb9c, v32
	v_add_f16_e32 v32, v25, v31
	v_lshrrev_b32_e32 v36, 16, v12
	v_fmac_f16_e32 v17, 0xb8b4, v24
	v_add_f16_e32 v22, v35, v22
	v_fmac_f16_e32 v33, 0x38b4, v24
	v_add_f16_e32 v24, v19, v26
	v_fma_f16 v32, -0.5, v32, v36
	v_sub_f16_e32 v35, v18, v20
	v_fmac_f16_e32 v17, 0x34f2, v22
	v_sub_f16_e32 v37, v14, v16
	v_fmac_f16_e32 v36, -0.5, v24
	v_fmac_f16_e32 v33, 0x34f2, v22
	v_fmamk_f16 v22, v35, 0x3b9c, v32
	v_sub_f16_e32 v24, v19, v25
	v_sub_f16_e32 v38, v26, v31
	v_fmamk_f16 v39, v37, 0xbb9c, v36
	v_sub_f16_e32 v19, v25, v19
	v_fmac_f16_e32 v22, 0x38b4, v37
	v_sub_f16_e32 v25, v31, v26
	v_add_f16_e32 v24, v24, v38
	v_fmac_f16_e32 v36, 0x3b9c, v37
	v_fmac_f16_e32 v32, 0xbb9c, v35
	v_pk_add_f16 v12, v12, v18
	v_fmac_f16_e32 v39, 0x38b4, v35
	v_fmac_f16_e32 v22, 0x34f2, v24
	v_add_f16_e32 v19, v19, v25
	v_fmac_f16_e32 v36, 0xb8b4, v35
	v_fmac_f16_e32 v32, 0xb8b4, v37
	v_pk_add_f16 v12, v12, v14
	v_mul_f16_e32 v14, 0xb8b4, v22
	v_fmac_f16_e32 v39, 0x34f2, v19
	v_fmac_f16_e32 v36, 0x34f2, v19
	;; [unrolled: 1-line block ×3, first 2 shown]
	v_pk_add_f16 v12, v12, v16
	v_fmac_f16_e32 v14, 0x3a79, v23
	v_mul_f16_e32 v23, 0x38b4, v23
	v_mul_f16_e32 v18, 0xbb9c, v39
	;; [unrolled: 1-line block ×7, first 2 shown]
	v_fmac_f16_e32 v23, 0x3a79, v22
	v_fmac_f16_e32 v18, 0x34f2, v17
	;; [unrolled: 1-line block ×7, first 2 shown]
	v_pk_add_f16 v12, v12, v20
	v_add_f16_e32 v20, v29, v14
	v_add_f16_e32 v17, v34, v23
	;; [unrolled: 1-line block ×8, first 2 shown]
	v_sub_f16_e32 v14, v29, v14
	v_sub_f16_e32 v29, v30, v18
	;; [unrolled: 1-line block ×8, first 2 shown]
	v_pk_add_f16 v15, v13, v12
	v_pack_b32_f16 v17, v20, v17
	v_pack_b32_f16 v20, v25, v33
	;; [unrolled: 1-line block ×3, first 2 shown]
	v_pk_add_f16 v12, v13, v12 neg_lo:[0,1] neg_hi:[0,1]
	v_pack_b32_f16 v13, v35, v36
	v_pack_b32_f16 v19, v29, v19
	;; [unrolled: 1-line block ×5, first 2 shown]
	ds_store_2addr_b32 v4, v15, v17 offset1:1
	ds_store_2addr_b32 v4, v21, v20 offset0:2 offset1:3
	ds_store_2addr_b32 v4, v13, v12 offset0:4 offset1:5
	;; [unrolled: 1-line block ×4, first 2 shown]
	v_add_nc_u32_e32 v4, 0x800, v0
	v_add_nc_u32_e32 v8, 0xd00, v0
	;; [unrolled: 1-line block ×3, first 2 shown]
	v_lshl_add_u32 v21, v7, 2, 0
	v_lshl_add_u32 v20, v10, 2, 0
	global_wb scope:SCOPE_SE
	s_wait_dscnt 0x0
	s_barrier_signal -1
	s_barrier_wait -1
	global_inv scope:SCOPE_SE
	ds_load_2addr_b32 v[13:14], v4 offset0:28 offset1:190
	ds_load_2addr_b32 v[15:16], v8 offset0:32 offset1:248
	;; [unrolled: 1-line block ×3, first 2 shown]
	ds_load_b32 v28, v0
	ds_load_b32 v27, v21
	;; [unrolled: 1-line block ×3, first 2 shown]
	v_lshl_add_u32 v19, v9, 2, 0
                                        ; implicit-def: $vgpr17
                                        ; implicit-def: $vgpr8
                                        ; implicit-def: $vgpr30
                                        ; implicit-def: $vgpr29
	s_and_saveexec_b32 s1, s0
	s_cbranch_execz .LBB0_15
; %bb.14:
	ds_load_b32 v18, v19
	ds_load_b32 v8, v0 offset:6264
	ds_load_b32 v29, v0 offset:4104
	s_wait_dscnt 0x2
	v_lshrrev_b32_e32 v23, 16, v18
	s_wait_dscnt 0x1
	v_lshrrev_b32_e32 v17, 16, v8
	;; [unrolled: 2-line block ×3, first 2 shown]
.LBB0_15:
	s_wait_alu 0xfffe
	s_or_b32 exec_lo, exec_lo, s1
	v_and_b32_e32 v24, 0xff, v3
	v_and_b32_e32 v4, 0xffff, v7
	v_and_b32_e32 v25, 0xffff, v10
	v_and_b32_e32 v26, 0xffff, v9
	s_wait_dscnt 0x5
	v_lshrrev_b32_e32 v50, 16, v13
	v_mul_lo_u16 v31, 0xcd, v24
	v_mul_u32_u24_e32 v32, 0xcccd, v4
	v_mul_u32_u24_e32 v33, 0xcccd, v25
	s_wait_dscnt 0x4
	v_lshrrev_b32_e32 v51, 16, v16
	v_lshrrev_b32_e32 v52, 16, v14
	v_lshrrev_b16 v41, 11, v31
	v_mul_u32_u24_e32 v31, 0xcccd, v26
	v_lshrrev_b32_e32 v42, 19, v32
	v_lshrrev_b32_e32 v43, 19, v33
	s_wait_dscnt 0x3
	v_lshrrev_b32_e32 v53, 16, v11
	v_mul_lo_u16 v32, v41, 10
	v_lshrrev_b32_e32 v31, 19, v31
	v_mul_lo_u16 v33, v42, 10
	v_mul_lo_u16 v34, v43, 10
	v_and_b32_e32 v41, 0xffff, v41
	v_sub_nc_u16 v32, v3, v32
	v_mul_lo_u16 v35, v31, 10
	v_sub_nc_u16 v33, v7, v33
	v_sub_nc_u16 v34, v10, v34
	v_mul_u32_u24_e32 v42, 0x78, v42
	v_and_b32_e32 v44, 0xff, v32
	v_sub_nc_u16 v32, v9, v35
	v_and_b32_e32 v45, 0xffff, v33
	v_and_b32_e32 v46, 0xffff, v34
	v_mul_u32_u24_e32 v41, 0x78, v41
	v_lshlrev_b32_e32 v33, 3, v44
	v_and_b32_e32 v32, 0xffff, v32
	v_lshlrev_b32_e32 v35, 3, v45
	v_lshlrev_b32_e32 v37, 3, v46
	;; [unrolled: 1-line block ×3, first 2 shown]
	global_load_b64 v[33:34], v33, s[8:9]
	v_lshlrev_b32_e32 v39, 3, v32
	v_lshlrev_b32_e32 v45, 2, v45
	s_clause 0x2
	global_load_b64 v[35:36], v35, s[8:9]
	global_load_b64 v[37:38], v37, s[8:9]
	global_load_b64 v[39:40], v39, s[8:9]
	v_mul_u32_u24_e32 v43, 0x78, v43
	v_lshlrev_b32_e32 v46, 2, v46
	v_add3_u32 v41, 0, v41, v44
	v_add3_u32 v42, 0, v42, v45
	v_lshrrev_b32_e32 v54, 16, v15
	v_lshrrev_b32_e32 v55, 16, v12
	v_add3_u32 v43, 0, v43, v46
	s_wait_dscnt 0x2
	v_lshrrev_b32_e32 v47, 16, v28
	s_wait_dscnt 0x1
	v_lshrrev_b32_e32 v48, 16, v27
	;; [unrolled: 2-line block ×3, first 2 shown]
	global_wb scope:SCOPE_SE
	s_wait_loadcnt 0x0
	s_barrier_signal -1
	s_barrier_wait -1
	global_inv scope:SCOPE_SE
	v_lshrrev_b32_e32 v44, 16, v33
	v_lshrrev_b32_e32 v45, 16, v34
	;; [unrolled: 1-line block ×8, first 2 shown]
	v_mul_f16_e32 v61, v44, v50
	v_mul_f16_e32 v44, v44, v13
	;; [unrolled: 1-line block ×16, first 2 shown]
	v_fmac_f16_e32 v61, v33, v13
	v_fma_f16 v13, v33, v50, -v44
	v_fmac_f16_e32 v62, v34, v16
	v_fma_f16 v16, v34, v51, -v45
	;; [unrolled: 2-line block ×8, first 2 shown]
	v_add_f16_e32 v30, v61, v62
	v_sub_f16_e32 v33, v13, v16
	v_add_f16_e32 v34, v47, v13
	v_add_f16_e32 v13, v13, v16
	v_add_f16_e32 v37, v63, v64
	v_sub_f16_e32 v38, v14, v11
	v_add_f16_e32 v39, v48, v14
	v_add_f16_e32 v14, v14, v11
	;; [unrolled: 4-line block ×4, first 2 shown]
	v_sub_f16_e32 v54, v29, v17
	v_add_f16_e32 v55, v23, v29
	v_add_f16_e32 v29, v29, v17
	v_fmac_f16_e32 v28, -0.5, v30
	v_fmac_f16_e32 v47, -0.5, v13
	v_add_f16_e32 v44, v22, v65
	v_sub_f16_e32 v40, v63, v64
	v_fmac_f16_e32 v27, -0.5, v37
	v_fmac_f16_e32 v48, -0.5, v14
	v_sub_f16_e32 v51, v65, v66
	v_fmac_f16_e32 v22, -0.5, v45
	v_fmac_f16_e32 v49, -0.5, v15
	v_add_f16_e32 v52, v18, v67
	v_sub_f16_e32 v56, v67, v68
	v_add_f16_e32 v57, v8, v62
	v_add_f16_e32 v16, v34, v16
	;; [unrolled: 1-line block ×4, first 2 shown]
	v_fmac_f16_e32 v18, -0.5, v53
	v_fmac_f16_e32 v23, -0.5, v29
	v_fmamk_f16 v15, v33, 0xbaee, v28
	v_fmac_f16_e32 v28, 0x3aee, v33
	v_fmamk_f16 v33, v35, 0x3aee, v47
	v_add_f16_e32 v14, v44, v66
	v_add_f16_e32 v12, v50, v12
	v_fmac_f16_e32 v47, 0xbaee, v35
	v_fmamk_f16 v34, v38, 0xbaee, v27
	v_fmamk_f16 v35, v40, 0x3aee, v48
	v_fmac_f16_e32 v27, 0x3aee, v38
	v_fmac_f16_e32 v48, 0xbaee, v40
	v_fmamk_f16 v36, v46, 0xbaee, v22
	v_fmamk_f16 v37, v51, 0x3aee, v49
	v_add_f16_e32 v8, v52, v68
	v_add_f16_e32 v17, v55, v17
	v_fmac_f16_e32 v22, 0x3aee, v46
	v_fmac_f16_e32 v49, 0xbaee, v51
	v_fmamk_f16 v29, v54, 0xbaee, v18
	v_fmac_f16_e32 v18, 0x3aee, v54
	v_fmamk_f16 v30, v56, 0x3aee, v23
	v_fmac_f16_e32 v23, 0xbaee, v56
	v_pack_b32_f16 v16, v57, v16
	v_pack_b32_f16 v11, v13, v11
	;; [unrolled: 1-line block ×9, first 2 shown]
	ds_store_2addr_b32 v41, v16, v13 offset1:10
	ds_store_b32 v41, v14 offset:80
	ds_store_2addr_b32 v42, v11, v15 offset1:10
	ds_store_b32 v42, v27 offset:80
	;; [unrolled: 2-line block ×3, first 2 shown]
	s_and_saveexec_b32 s1, s0
	s_cbranch_execz .LBB0_17
; %bb.16:
	v_mul_lo_u16 v11, v31, 30
	v_lshlrev_b32_e32 v12, 2, v32
	v_perm_b32 v13, v17, v8, 0x5040100
	v_perm_b32 v14, v30, v29, 0x5040100
	s_delay_alu instid0(VALU_DEP_4) | instskip(NEXT) | instid1(VALU_DEP_1)
	v_and_b32_e32 v11, 0xffff, v11
	v_lshlrev_b32_e32 v11, 2, v11
	s_delay_alu instid0(VALU_DEP_1)
	v_add3_u32 v11, 0, v12, v11
	v_perm_b32 v12, v23, v18, 0x5040100
	ds_store_2addr_b32 v11, v13, v14 offset1:10
	ds_store_b32 v11, v12 offset:80
.LBB0_17:
	s_wait_alu 0xfffe
	s_or_b32 exec_lo, exec_lo, s1
	v_add_nc_u32_e32 v11, 0x800, v0
	v_add_nc_u32_e32 v12, 0xd00, v0
	;; [unrolled: 1-line block ×3, first 2 shown]
	global_wb scope:SCOPE_SE
	s_wait_dscnt 0x0
	s_barrier_signal -1
	s_barrier_wait -1
	global_inv scope:SCOPE_SE
	ds_load_2addr_b32 v[15:16], v11 offset0:28 offset1:190
	ds_load_2addr_b32 v[13:14], v12 offset0:32 offset1:248
	;; [unrolled: 1-line block ×3, first 2 shown]
	ds_load_b32 v28, v0
	ds_load_b32 v27, v21
	;; [unrolled: 1-line block ×3, first 2 shown]
	s_and_saveexec_b32 s1, s0
	s_cbranch_execz .LBB0_19
; %bb.18:
	ds_load_b32 v8, v19
	ds_load_b32 v18, v0 offset:6264
	ds_load_b32 v29, v0 offset:4104
	s_wait_dscnt 0x2
	v_lshrrev_b32_e32 v17, 16, v8
	s_wait_dscnt 0x1
	v_lshrrev_b32_e32 v23, 16, v18
	;; [unrolled: 2-line block ×3, first 2 shown]
.LBB0_19:
	s_wait_alu 0xfffe
	s_or_b32 exec_lo, exec_lo, s1
	v_mul_lo_u16 v24, 0x89, v24
	v_mul_u32_u24_e32 v31, 0x8889, v4
	v_mul_u32_u24_e32 v25, 0x8889, v25
	s_wait_dscnt 0x5
	v_lshrrev_b32_e32 v47, 16, v15
	s_wait_dscnt 0x4
	v_lshrrev_b32_e32 v48, 16, v14
	v_lshrrev_b16 v40, 12, v24
	v_mul_u32_u24_e32 v24, 0x8889, v26
	v_lshrrev_b32_e32 v41, 20, v31
	v_lshrrev_b32_e32 v25, 20, v25
	;; [unrolled: 1-line block ×3, first 2 shown]
	v_mul_lo_u16 v31, v40, 30
	v_lshrrev_b32_e32 v26, 20, v24
	v_mul_lo_u16 v24, v41, 30
	v_mul_lo_u16 v32, v25, 30
	v_and_b32_e32 v40, 0xffff, v40
	v_sub_nc_u16 v31, v3, v31
	v_mul_lo_u16 v33, v26, 30
	v_sub_nc_u16 v24, v7, v24
	v_sub_nc_u16 v32, v10, v32
	v_mul_u32_u24_e32 v41, 0x168, v41
	v_and_b32_e32 v42, 0xff, v31
	v_sub_nc_u16 v31, v9, v33
	v_and_b32_e32 v43, 0xffff, v24
	v_and_b32_e32 v44, 0xffff, v32
	v_mul_u32_u24_e32 v25, 0x168, v25
	v_lshlrev_b32_e32 v24, 3, v42
	v_and_b32_e32 v31, 0xffff, v31
	v_lshlrev_b32_e32 v34, 3, v43
	v_lshlrev_b32_e32 v36, 3, v44
	v_mul_u32_u24_e32 v40, 0x168, v40
	global_load_b64 v[32:33], v24, s[8:9] offset:80
	v_lshlrev_b32_e32 v24, 3, v31
	v_lshlrev_b32_e32 v42, 2, v42
	s_clause 0x2
	global_load_b64 v[34:35], v34, s[8:9] offset:80
	global_load_b64 v[36:37], v36, s[8:9] offset:80
	;; [unrolled: 1-line block ×3, first 2 shown]
	v_lshlrev_b32_e32 v43, 2, v43
	v_lshlrev_b32_e32 v44, 2, v44
	v_add3_u32 v40, 0, v40, v42
	s_wait_dscnt 0x3
	v_lshrrev_b32_e32 v50, 16, v11
	v_lshrrev_b32_e32 v51, 16, v13
	v_add3_u32 v41, 0, v41, v43
	v_add3_u32 v42, 0, v25, v44
	v_lshrrev_b32_e32 v52, 16, v12
	s_wait_dscnt 0x2
	v_lshrrev_b32_e32 v45, 16, v28
	s_wait_dscnt 0x1
	;; [unrolled: 2-line block ×3, first 2 shown]
	v_lshrrev_b32_e32 v24, 16, v22
	global_wb scope:SCOPE_SE
	s_wait_loadcnt 0x0
	s_barrier_signal -1
	s_barrier_wait -1
	global_inv scope:SCOPE_SE
	v_lshrrev_b32_e32 v25, 16, v32
	v_lshrrev_b32_e32 v43, 16, v33
	;; [unrolled: 1-line block ×8, first 2 shown]
	v_mul_f16_e32 v58, v25, v47
	v_mul_f16_e32 v25, v25, v15
	;; [unrolled: 1-line block ×16, first 2 shown]
	v_fmac_f16_e32 v58, v32, v15
	v_fma_f16 v15, v32, v47, -v25
	v_fmac_f16_e32 v59, v33, v14
	v_fma_f16 v14, v33, v48, -v43
	;; [unrolled: 2-line block ×8, first 2 shown]
	v_add_f16_e32 v29, v58, v59
	v_sub_f16_e32 v30, v15, v14
	v_add_f16_e32 v32, v45, v15
	v_add_f16_e32 v15, v15, v14
	v_add_f16_e32 v35, v60, v61
	v_sub_f16_e32 v36, v16, v11
	v_add_f16_e32 v37, v46, v16
	v_add_f16_e32 v16, v16, v11
	;; [unrolled: 4-line block ×3, first 2 shown]
	v_add_f16_e32 v23, v28, v58
	v_sub_f16_e32 v33, v58, v59
	v_add_f16_e32 v50, v64, v65
	v_sub_f16_e32 v51, v25, v18
	v_add_f16_e32 v52, v17, v25
	v_add_f16_e32 v25, v25, v18
	v_fmac_f16_e32 v28, -0.5, v29
	v_fmac_f16_e32 v45, -0.5, v15
	v_add_f16_e32 v34, v27, v60
	v_sub_f16_e32 v38, v60, v61
	v_fmac_f16_e32 v27, -0.5, v35
	v_fmac_f16_e32 v46, -0.5, v16
	v_add_f16_e32 v39, v22, v62
	v_sub_f16_e32 v48, v62, v63
	;; [unrolled: 4-line block ×3, first 2 shown]
	v_add_f16_e32 v54, v23, v59
	v_add_f16_e32 v29, v32, v14
	v_fmac_f16_e32 v8, -0.5, v50
	v_fmac_f16_e32 v17, -0.5, v25
	v_fmamk_f16 v13, v30, 0xbaee, v28
	v_fmac_f16_e32 v28, 0x3aee, v30
	v_fmamk_f16 v30, v33, 0x3aee, v45
	v_fmac_f16_e32 v45, 0xbaee, v33
	v_add_f16_e32 v32, v34, v61
	v_add_f16_e32 v34, v37, v11
	v_fmamk_f16 v33, v36, 0xbaee, v27
	v_fmamk_f16 v35, v38, 0x3aee, v46
	v_fmac_f16_e32 v27, 0x3aee, v36
	v_fmac_f16_e32 v46, 0xbaee, v38
	v_add_f16_e32 v11, v39, v63
	v_add_f16_e32 v12, v47, v12
	;; [unrolled: 1-line block ×3, first 2 shown]
	v_fmamk_f16 v18, v44, 0xbaee, v22
	v_fmamk_f16 v25, v48, 0x3aee, v24
	v_add_f16_e32 v14, v49, v65
	v_fmac_f16_e32 v22, 0x3aee, v44
	v_fmac_f16_e32 v24, 0xbaee, v48
	v_fmamk_f16 v16, v51, 0xbaee, v8
	v_fmac_f16_e32 v8, 0x3aee, v51
	v_fmamk_f16 v23, v53, 0x3aee, v17
	v_fmac_f16_e32 v17, 0xbaee, v53
	v_pack_b32_f16 v29, v54, v29
	v_pack_b32_f16 v13, v13, v30
	;; [unrolled: 1-line block ×9, first 2 shown]
	ds_store_2addr_b32 v40, v29, v13 offset1:30
	ds_store_b32 v40, v28 offset:240
	ds_store_2addr_b32 v41, v32, v30 offset1:30
	ds_store_b32 v41, v27 offset:240
	ds_store_2addr_b32 v42, v34, v33 offset1:30
	ds_store_b32 v42, v35 offset:240
	s_and_saveexec_b32 s1, s0
	s_cbranch_execz .LBB0_21
; %bb.20:
	v_mul_lo_u16 v13, 0x5a, v26
	v_lshlrev_b32_e32 v26, 2, v31
	v_perm_b32 v27, v15, v14, 0x5040100
	v_perm_b32 v28, v23, v16, 0x5040100
	s_delay_alu instid0(VALU_DEP_4) | instskip(NEXT) | instid1(VALU_DEP_1)
	v_and_b32_e32 v13, 0xffff, v13
	v_lshlrev_b32_e32 v13, 2, v13
	s_delay_alu instid0(VALU_DEP_1)
	v_add3_u32 v13, 0, v26, v13
	v_perm_b32 v26, v17, v8, 0x5040100
	ds_store_2addr_b32 v13, v27, v28 offset1:30
	ds_store_b32 v13, v26 offset:240
.LBB0_21:
	s_wait_alu 0xfffe
	s_or_b32 exec_lo, exec_lo, s1
	global_wb scope:SCOPE_SE
	s_wait_dscnt 0x0
	s_barrier_signal -1
	s_barrier_wait -1
	global_inv scope:SCOPE_SE
	ds_load_b32 v13, v0
	ds_load_b32 v32, v0 offset:1080
	ds_load_b32 v31, v0 offset:2160
	;; [unrolled: 1-line block ×5, first 2 shown]
	v_cmp_gt_u32_e64 s1, 0x6c, v3
	s_delay_alu instid0(VALU_DEP_1)
	s_and_saveexec_b32 s2, s1
	s_cbranch_execz .LBB0_23
; %bb.22:
	ds_load_b32 v11, v21
	ds_load_b32 v14, v0 offset:3888
	ds_load_b32 v16, v0 offset:4968
	;; [unrolled: 1-line block ×5, first 2 shown]
	s_wait_dscnt 0x5
	v_lshrrev_b32_e32 v12, 16, v11
	s_wait_dscnt 0x4
	v_lshrrev_b32_e32 v15, 16, v14
	;; [unrolled: 2-line block ×6, first 2 shown]
.LBB0_23:
	s_wait_alu 0xfffe
	s_or_b32 exec_lo, exec_lo, s2
	v_add_nc_u32_e32 v26, 0xffffffa6, v3
	v_mul_u32_u24_e32 v4, 0x2d83, v4
	v_cmp_gt_u32_e64 s2, 0x5a, v3
	s_wait_dscnt 0x4
	v_lshrrev_b32_e32 v45, 16, v32
	s_wait_dscnt 0x2
	v_lshrrev_b32_e32 v46, 16, v30
	;; [unrolled: 2-line block ×4, first 2 shown]
	s_wait_alu 0xf1ff
	v_cndmask_b32_e64 v41, v26, v3, s2
	v_lshrrev_b32_e32 v26, 20, v4
	v_lshrrev_b32_e32 v44, 16, v13
	s_delay_alu instid0(VALU_DEP_3) | instskip(NEXT) | instid1(VALU_DEP_3)
	v_mul_i32_i24_e32 v33, 5, v41
	v_mul_lo_u16 v4, 0x5a, v26
	v_lshlrev_b32_e32 v41, 2, v41
	s_delay_alu instid0(VALU_DEP_2) | instskip(NEXT) | instid1(VALU_DEP_1)
	v_sub_nc_u16 v4, v7, v4
	v_dual_mov_b32 v34, 0 :: v_dual_and_b32 v27, 0xffff, v4
	s_delay_alu instid0(VALU_DEP_1) | instskip(NEXT) | instid1(VALU_DEP_1)
	v_lshlrev_b64_e32 v[33:34], 2, v[33:34]
	v_add_co_u32 v37, s2, s8, v33
	s_wait_alu 0xf1ff
	s_delay_alu instid0(VALU_DEP_2)
	v_add_co_ci_u32_e64 v38, s2, s9, v34, s2
	s_clause 0x1
	global_load_b128 v[33:36], v[37:38], off offset:320
	global_load_b32 v4, v[37:38], off offset:336
	v_mul_u32_u24_e32 v37, 5, v27
	v_cmp_lt_u32_e64 s2, 0x59, v3
	s_delay_alu instid0(VALU_DEP_2)
	v_lshlrev_b32_e32 v42, 2, v37
	s_clause 0x1
	global_load_b128 v[37:40], v42, s[8:9] offset:320
	global_load_b32 v42, v42, s[8:9] offset:336
	s_wait_alu 0xf1ff
	v_cndmask_b32_e64 v43, 0, 0x870, s2
	global_wb scope:SCOPE_SE
	s_wait_loadcnt 0x0
	s_barrier_signal -1
	s_barrier_wait -1
	global_inv scope:SCOPE_SE
	v_add3_u32 v41, 0, v43, v41
	v_lshrrev_b32_e32 v43, 16, v31
	s_delay_alu instid0(VALU_DEP_2)
	v_add_nc_u32_e32 v49, 0x200, v41
	v_add_nc_u32_e32 v50, 0x400, v41
	v_lshrrev_b32_e32 v51, 16, v33
	v_lshrrev_b32_e32 v52, 16, v34
	;; [unrolled: 1-line block ×5, first 2 shown]
	v_mul_f16_e32 v56, v51, v45
	v_mul_f16_e32 v51, v51, v32
	;; [unrolled: 1-line block ×10, first 2 shown]
	v_lshrrev_b32_e32 v63, 16, v39
	v_lshrrev_b32_e32 v65, 16, v42
	;; [unrolled: 1-line block ×5, first 2 shown]
	v_fmac_f16_e32 v56, v33, v32
	v_fma_f16 v32, v33, v45, -v51
	v_fmac_f16_e32 v57, v34, v31
	v_fma_f16 v31, v34, v43, -v52
	v_fmac_f16_e32 v58, v35, v30
	v_fma_f16 v30, v35, v46, -v53
	v_fmac_f16_e32 v59, v36, v29
	v_fma_f16 v29, v36, v47, -v54
	v_fmac_f16_e32 v60, v4, v28
	v_fma_f16 v4, v4, v48, -v55
	v_mul_f16_e32 v36, v15, v63
	v_mul_f16_e32 v43, v14, v63
	;; [unrolled: 1-line block ×10, first 2 shown]
	v_sub_f16_e32 v62, v30, v4
	v_add_f16_e32 v63, v32, v30
	v_add_f16_e32 v30, v30, v4
	v_fmac_f16_e32 v36, v14, v39
	v_fma_f16 v14, v15, v39, -v43
	v_fmac_f16_e32 v47, v8, v42
	v_fma_f16 v8, v17, v42, -v48
	v_add_f16_e32 v51, v13, v57
	v_add_f16_e32 v52, v57, v59
	v_sub_f16_e32 v53, v31, v29
	v_add_f16_e32 v54, v44, v31
	v_add_f16_e32 v31, v31, v29
	v_sub_f16_e32 v55, v57, v59
	;; [unrolled: 3-line block ×3, first 2 shown]
	v_fmac_f16_e32 v33, v18, v37
	v_fma_f16 v25, v25, v37, -v28
	v_fmac_f16_e32 v34, v22, v38
	v_fma_f16 v18, v24, v38, -v35
	;; [unrolled: 2-line block ×3, first 2 shown]
	v_fmac_f16_e32 v32, -0.5, v30
	v_add_f16_e32 v38, v14, v8
	v_add_f16_e32 v16, v51, v59
	;; [unrolled: 1-line block ×3, first 2 shown]
	v_fmac_f16_e32 v44, -0.5, v31
	v_add_f16_e32 v22, v57, v60
	v_fmac_f16_e32 v56, -0.5, v61
	v_add_f16_e32 v4, v63, v4
	v_add_f16_e32 v23, v11, v34
	;; [unrolled: 1-line block ×3, first 2 shown]
	v_sub_f16_e32 v28, v18, v15
	v_add_f16_e32 v29, v12, v18
	v_add_f16_e32 v18, v18, v15
	v_sub_f16_e32 v30, v34, v45
	v_add_f16_e32 v31, v33, v36
	v_add_f16_e32 v34, v36, v47
	;; [unrolled: 1-line block ×3, first 2 shown]
	v_sub_f16_e32 v36, v36, v47
	v_fmamk_f16 v43, v58, 0x3aee, v32
	v_fmac_f16_e32 v32, 0xbaee, v58
	v_fmac_f16_e32 v25, -0.5, v38
	v_fmac_f16_e32 v13, -0.5, v52
	v_sub_f16_e32 v35, v14, v8
	v_fmamk_f16 v42, v62, 0xbaee, v56
	v_fmac_f16_e32 v56, 0x3aee, v62
	v_add_f16_e32 v46, v16, v22
	v_add_f16_e32 v48, v17, v4
	v_sub_f16_e32 v22, v16, v22
	v_sub_f16_e32 v4, v17, v4
	v_add_f16_e32 v14, v23, v45
	v_fmac_f16_e32 v11, -0.5, v24
	v_add_f16_e32 v16, v29, v15
	v_fmac_f16_e32 v12, -0.5, v18
	;; [unrolled: 2-line block ×3, first 2 shown]
	v_mul_f16_e32 v23, 0xbaee, v43
	v_mul_f16_e32 v24, 0xbaee, v32
	v_mul_f16_e32 v34, 0.5, v43
	v_fmamk_f16 v31, v36, 0x3aee, v25
	v_fmac_f16_e32 v25, 0xbaee, v36
	v_add_f16_e32 v17, v37, v8
	v_mul_f16_e32 v37, -0.5, v32
	v_fmamk_f16 v39, v53, 0xbaee, v13
	v_fmac_f16_e32 v13, 0x3aee, v53
	v_fmamk_f16 v40, v55, 0x3aee, v44
	v_pack_b32_f16 v43, v22, v4
	v_fmamk_f16 v18, v28, 0xbaee, v11
	v_fmac_f16_e32 v11, 0x3aee, v28
	v_fmamk_f16 v28, v30, 0x3aee, v12
	v_fmac_f16_e32 v12, 0xbaee, v30
	;; [unrolled: 2-line block ×3, first 2 shown]
	v_fmac_f16_e32 v23, 0.5, v42
	v_fmac_f16_e32 v24, -0.5, v56
	v_fmac_f16_e32 v34, 0x3aee, v42
	v_mul_f16_e32 v29, 0xbaee, v31
	v_mul_f16_e32 v30, 0xbaee, v25
	v_mul_f16_e32 v31, 0.5, v31
	v_mul_f16_e32 v32, -0.5, v25
	v_fmac_f16_e32 v44, 0xbaee, v55
	v_fmac_f16_e32 v37, 0x3aee, v56
	v_add_f16_e32 v25, v39, v23
	v_add_f16_e32 v35, v13, v24
	;; [unrolled: 1-line block ×3, first 2 shown]
	v_sub_f16_e32 v23, v39, v23
	v_sub_f16_e32 v13, v13, v24
	;; [unrolled: 1-line block ×3, first 2 shown]
	v_fmac_f16_e32 v29, 0.5, v22
	v_fmac_f16_e32 v30, -0.5, v33
	v_fmac_f16_e32 v31, 0x3aee, v22
	v_fmac_f16_e32 v32, 0x3aee, v33
	v_add_f16_e32 v42, v44, v37
	v_sub_f16_e32 v34, v44, v37
	v_pack_b32_f16 v38, v46, v48
	v_sub_f16_e32 v4, v14, v15
	v_sub_f16_e32 v8, v16, v17
	v_pack_b32_f16 v33, v25, v36
	v_pack_b32_f16 v36, v23, v24
	v_sub_f16_e32 v23, v18, v29
	v_sub_f16_e32 v22, v11, v30
	;; [unrolled: 1-line block ×4, first 2 shown]
	v_pack_b32_f16 v35, v35, v42
	v_pack_b32_f16 v13, v13, v34
	ds_store_2addr_b32 v41, v38, v33 offset1:90
	ds_store_2addr_b32 v49, v35, v43 offset0:52 offset1:142
	ds_store_2addr_b32 v50, v36, v13 offset0:104 offset1:194
	s_and_saveexec_b32 s2, s1
	s_cbranch_execz .LBB0_25
; %bb.24:
	v_mul_lo_u16 v13, 0x21c, v26
	v_add_f16_e32 v16, v16, v17
	v_lshlrev_b32_e32 v17, 2, v27
	v_add_f16_e32 v26, v28, v31
	v_add_f16_e32 v18, v18, v29
	v_and_b32_e32 v13, 0xffff, v13
	v_add_f16_e32 v14, v14, v15
	v_add_f16_e32 v12, v12, v32
	;; [unrolled: 1-line block ×3, first 2 shown]
	v_perm_b32 v15, v8, v4, 0x5040100
	v_lshlrev_b32_e32 v13, 2, v13
	v_pack_b32_f16 v14, v14, v16
	v_pack_b32_f16 v16, v18, v26
	;; [unrolled: 1-line block ×3, first 2 shown]
	v_perm_b32 v27, v25, v23, 0x5040100
	v_add3_u32 v13, 0, v17, v13
	v_perm_b32 v17, v24, v22, 0x5040100
	s_delay_alu instid0(VALU_DEP_2)
	v_add_nc_u32_e32 v12, 0x200, v13
	v_add_nc_u32_e32 v18, 0x400, v13
	ds_store_2addr_b32 v13, v14, v16 offset1:90
	ds_store_2addr_b32 v12, v11, v15 offset0:52 offset1:142
	ds_store_2addr_b32 v18, v27, v17 offset0:104 offset1:194
.LBB0_25:
	s_wait_alu 0xfffe
	s_or_b32 exec_lo, exec_lo, s2
	v_add_nc_u32_e32 v11, 0x800, v0
	v_add_nc_u32_e32 v12, 0xd00, v0
	v_add_nc_u32_e32 v13, 0x1200, v0
	global_wb scope:SCOPE_SE
	s_wait_dscnt 0x0
	s_barrier_signal -1
	s_barrier_wait -1
	global_inv scope:SCOPE_SE
	ds_load_2addr_b32 v[17:18], v11 offset0:28 offset1:190
	ds_load_2addr_b32 v[15:16], v12 offset0:32 offset1:248
	;; [unrolled: 1-line block ×3, first 2 shown]
	ds_load_b32 v28, v0
	ds_load_b32 v27, v21
	;; [unrolled: 1-line block ×3, first 2 shown]
	s_and_saveexec_b32 s1, s0
	s_cbranch_execz .LBB0_27
; %bb.26:
	ds_load_b32 v4, v19
	ds_load_b32 v22, v0 offset:6264
	ds_load_b32 v23, v0 offset:4104
	s_wait_dscnt 0x2
	v_lshrrev_b32_e32 v8, 16, v4
	s_wait_dscnt 0x1
	v_lshrrev_b32_e32 v24, 16, v22
	;; [unrolled: 2-line block ×3, first 2 shown]
.LBB0_27:
	s_wait_alu 0xfffe
	s_or_b32 exec_lo, exec_lo, s1
	v_dual_mov_b32 v12, 0 :: v_dual_lshlrev_b32 v11, 1, v3
	s_wait_dscnt 0x4
	v_lshrrev_b32_e32 v41, 16, v16
	v_lshrrev_b32_e32 v42, 16, v17
	s_wait_dscnt 0x3
	v_lshrrev_b32_e32 v39, 16, v13
	v_lshrrev_b32_e32 v40, 16, v18
	v_lshlrev_b64_e32 v[29:30], 2, v[11:12]
	v_lshlrev_b32_e32 v11, 1, v7
	v_lshrrev_b32_e32 v37, 16, v14
	v_lshrrev_b32_e32 v38, 16, v15
	s_wait_dscnt 0x1
	v_lshrrev_b32_e32 v35, 16, v27
	s_wait_dscnt 0x0
	v_lshrrev_b32_e32 v36, 16, v26
	v_lshlrev_b64_e32 v[31:32], 2, v[11:12]
	v_lshlrev_b32_e32 v11, 1, v10
	v_add_co_u32 v29, s1, s8, v29
	s_wait_alu 0xf1ff
	v_add_co_ci_u32_e64 v30, s1, s9, v30, s1
	s_delay_alu instid0(VALU_DEP_3)
	v_lshlrev_b64_e32 v[33:34], 2, v[11:12]
	v_add_co_u32 v31, s1, s8, v31
	global_load_b64 v[29:30], v[29:30], off offset:2120
	s_wait_alu 0xf1ff
	v_add_co_ci_u32_e64 v32, s1, s9, v32, s1
	v_add_co_u32 v33, s1, s8, v33
	s_wait_alu 0xf1ff
	v_add_co_ci_u32_e64 v34, s1, s9, v34, s1
	global_load_b64 v[31:32], v[31:32], off offset:2120
	v_lshrrev_b32_e32 v11, 16, v28
	global_load_b64 v[33:34], v[33:34], off offset:2120
	global_wb scope:SCOPE_SE
	s_wait_loadcnt 0x0
	s_barrier_signal -1
	s_barrier_wait -1
	global_inv scope:SCOPE_SE
	v_lshrrev_b32_e32 v43, 16, v29
	v_lshrrev_b32_e32 v44, 16, v30
	s_delay_alu instid0(VALU_DEP_2) | instskip(SKIP_1) | instid1(VALU_DEP_3)
	v_mul_f16_e32 v45, v43, v42
	v_mul_f16_e32 v43, v43, v17
	;; [unrolled: 1-line block ×4, first 2 shown]
	v_lshrrev_b32_e32 v47, 16, v31
	v_lshrrev_b32_e32 v48, 16, v32
	v_fmac_f16_e32 v45, v29, v17
	v_fma_f16 v17, v29, v42, -v43
	v_fmac_f16_e32 v46, v30, v16
	v_fma_f16 v16, v30, v41, -v44
	v_mul_f16_e32 v29, v47, v40
	v_mul_f16_e32 v30, v47, v18
	;; [unrolled: 1-line block ×4, first 2 shown]
	v_lshrrev_b32_e32 v43, 16, v33
	v_lshrrev_b32_e32 v44, 16, v34
	v_fmac_f16_e32 v29, v31, v18
	v_fma_f16 v18, v31, v40, -v30
	v_fmac_f16_e32 v41, v32, v13
	v_fma_f16 v13, v32, v39, -v42
	v_mul_f16_e32 v30, v43, v38
	v_mul_f16_e32 v31, v43, v15
	v_mul_f16_e32 v32, v44, v37
	v_mul_f16_e32 v39, v44, v14
	v_add_f16_e32 v42, v45, v46
	v_sub_f16_e32 v43, v17, v16
	v_add_f16_e32 v44, v11, v17
	v_add_f16_e32 v17, v17, v16
	;; [unrolled: 1-line block ×3, first 2 shown]
	v_fmac_f16_e32 v30, v33, v15
	v_fma_f16 v15, v33, v38, -v31
	v_fmac_f16_e32 v32, v34, v14
	v_fma_f16 v14, v34, v37, -v39
	v_add_f16_e32 v33, v29, v41
	v_add_f16_e32 v37, v35, v18
	v_sub_f16_e32 v34, v18, v13
	v_add_f16_e32 v18, v18, v13
	v_sub_f16_e32 v45, v45, v46
	v_fmac_f16_e32 v28, -0.5, v42
	v_fmac_f16_e32 v11, -0.5, v17
	v_add_f16_e32 v31, v40, v46
	v_add_f16_e32 v17, v27, v29
	v_fmac_f16_e32 v27, -0.5, v33
	v_add_f16_e32 v13, v37, v13
	v_add_f16_e32 v33, v30, v32
	v_sub_f16_e32 v37, v15, v14
	v_add_f16_e32 v40, v36, v15
	v_add_f16_e32 v15, v15, v14
	;; [unrolled: 1-line block ×3, first 2 shown]
	v_sub_f16_e32 v29, v29, v41
	v_fmac_f16_e32 v35, -0.5, v18
	v_fmamk_f16 v38, v43, 0xbaee, v28
	v_fmamk_f16 v39, v45, 0x3aee, v11
	v_fmac_f16_e32 v28, 0x3aee, v43
	v_fmac_f16_e32 v11, 0xbaee, v45
	v_add_f16_e32 v18, v26, v30
	v_add_f16_e32 v17, v17, v41
	v_sub_f16_e32 v30, v30, v32
	v_fmac_f16_e32 v26, -0.5, v33
	v_fmac_f16_e32 v36, -0.5, v15
	v_pack_b32_f16 v16, v31, v16
	v_fmamk_f16 v31, v34, 0xbaee, v27
	v_fmac_f16_e32 v27, 0x3aee, v34
	v_fmamk_f16 v34, v29, 0x3aee, v35
	v_fmac_f16_e32 v35, 0xbaee, v29
	v_pack_b32_f16 v15, v38, v39
	v_add_f16_e32 v18, v18, v32
	v_add_f16_e32 v14, v40, v14
	v_pack_b32_f16 v11, v28, v11
	v_pack_b32_f16 v13, v17, v13
	v_fmamk_f16 v17, v37, 0xbaee, v26
	v_fmamk_f16 v28, v30, 0x3aee, v36
	v_fmac_f16_e32 v26, 0x3aee, v37
	v_fmac_f16_e32 v36, 0xbaee, v30
	ds_store_b32 v0, v16
	ds_store_b32 v0, v15 offset:2160
	ds_store_b32 v0, v11 offset:4320
	v_pack_b32_f16 v11, v31, v34
	v_pack_b32_f16 v15, v27, v35
	;; [unrolled: 1-line block ×5, first 2 shown]
	ds_store_b32 v21, v13
	ds_store_b32 v21, v11 offset:2160
	ds_store_b32 v21, v15 offset:4320
	ds_store_b32 v20, v14
	ds_store_b32 v20, v16 offset:2160
	ds_store_b32 v20, v17 offset:4320
	s_and_saveexec_b32 s1, s0
	s_cbranch_execz .LBB0_29
; %bb.28:
	v_subrev_nc_u32_e32 v11, 54, v3
	s_delay_alu instid0(VALU_DEP_1) | instskip(NEXT) | instid1(VALU_DEP_1)
	v_cndmask_b32_e64 v11, v11, v9, s0
	v_lshlrev_b32_e32 v11, 1, v11
	s_delay_alu instid0(VALU_DEP_1) | instskip(NEXT) | instid1(VALU_DEP_1)
	v_lshlrev_b64_e32 v[11:12], 2, v[11:12]
	v_add_co_u32 v11, s0, s8, v11
	s_wait_alu 0xf1ff
	s_delay_alu instid0(VALU_DEP_2) | instskip(SKIP_4) | instid1(VALU_DEP_2)
	v_add_co_ci_u32_e64 v12, s0, s9, v12, s0
	global_load_b64 v[11:12], v[11:12], off offset:2120
	s_wait_loadcnt 0x0
	v_lshrrev_b32_e32 v13, 16, v11
	v_lshrrev_b32_e32 v14, 16, v12
	v_mul_f16_e32 v15, v23, v13
	s_delay_alu instid0(VALU_DEP_2) | instskip(SKIP_2) | instid1(VALU_DEP_4)
	v_mul_f16_e32 v16, v22, v14
	v_mul_f16_e32 v13, v25, v13
	;; [unrolled: 1-line block ×3, first 2 shown]
	v_fma_f16 v15, v25, v11, -v15
	s_delay_alu instid0(VALU_DEP_4) | instskip(NEXT) | instid1(VALU_DEP_4)
	v_fma_f16 v16, v24, v12, -v16
	v_fmac_f16_e32 v13, v23, v11
	s_delay_alu instid0(VALU_DEP_4) | instskip(NEXT) | instid1(VALU_DEP_4)
	v_fmac_f16_e32 v14, v22, v12
	v_add_f16_e32 v18, v8, v15
	s_delay_alu instid0(VALU_DEP_4) | instskip(NEXT) | instid1(VALU_DEP_3)
	v_add_f16_e32 v11, v15, v16
	v_add_f16_e32 v17, v13, v14
	v_sub_f16_e32 v12, v13, v14
	v_add_f16_e32 v13, v4, v13
	s_delay_alu instid0(VALU_DEP_4)
	v_fma_f16 v8, -0.5, v11, v8
	v_sub_f16_e32 v11, v15, v16
	v_fma_f16 v4, -0.5, v17, v4
	v_add_f16_e32 v15, v18, v16
	v_add_f16_e32 v13, v13, v14
	v_fmamk_f16 v14, v12, 0xbaee, v8
	v_fmac_f16_e32 v8, 0x3aee, v12
	v_fmamk_f16 v12, v11, 0x3aee, v4
	v_fmac_f16_e32 v4, 0xbaee, v11
	v_pack_b32_f16 v11, v13, v15
	s_delay_alu instid0(VALU_DEP_2) | instskip(NEXT) | instid1(VALU_DEP_4)
	v_pack_b32_f16 v4, v4, v8
	v_pack_b32_f16 v8, v12, v14
	ds_store_b32 v0, v11 offset:1944
	ds_store_b32 v0, v4 offset:4104
	;; [unrolled: 1-line block ×3, first 2 shown]
.LBB0_29:
	s_wait_alu 0xfffe
	s_or_b32 exec_lo, exec_lo, s1
	global_wb scope:SCOPE_SE
	s_wait_dscnt 0x0
	s_barrier_signal -1
	s_barrier_wait -1
	global_inv scope:SCOPE_SE
	ds_load_b32 v8, v0
	v_lshlrev_b32_e32 v4, 2, v3
	s_mov_b32 s1, exec_lo
                                        ; implicit-def: $vgpr17
                                        ; implicit-def: $vgpr16
                                        ; implicit-def: $vgpr15
                                        ; implicit-def: $vgpr12_vgpr13
	s_delay_alu instid0(VALU_DEP_1)
	v_sub_nc_u32_e32 v14, 0, v4
	v_cmpx_ne_u32_e32 0, v3
	s_wait_alu 0xfffe
	s_xor_b32 s1, exec_lo, s1
	s_cbranch_execz .LBB0_31
; %bb.30:
	v_mov_b32_e32 v4, 0
	s_delay_alu instid0(VALU_DEP_1) | instskip(NEXT) | instid1(VALU_DEP_1)
	v_lshlrev_b64_e32 v[11:12], 2, v[3:4]
	v_add_co_u32 v11, s0, s8, v11
	s_wait_alu 0xf1ff
	s_delay_alu instid0(VALU_DEP_2)
	v_add_co_ci_u32_e64 v12, s0, s9, v12, s0
	global_load_b32 v11, v[11:12], off offset:6440
	ds_load_b32 v12, v14 offset:6480
	s_wait_dscnt 0x0
	v_pk_add_f16 v13, v8, v12 neg_lo:[0,1] neg_hi:[0,1]
	v_pk_add_f16 v8, v12, v8
	s_delay_alu instid0(VALU_DEP_1) | instskip(SKIP_1) | instid1(VALU_DEP_2)
	v_bfi_b32 v12, 0xffff, v13, v8
	v_bfi_b32 v8, 0xffff, v8, v13
	v_pk_mul_f16 v12, v12, 0.5 op_sel_hi:[1,0]
	s_delay_alu instid0(VALU_DEP_2) | instskip(SKIP_1) | instid1(VALU_DEP_2)
	v_pk_mul_f16 v15, v8, 0.5 op_sel_hi:[1,0]
	s_wait_loadcnt 0x0
	v_pk_mul_f16 v13, v11, v12 op_sel:[1,0]
	v_pk_mul_f16 v11, v11, v12 op_sel_hi:[0,1]
	s_delay_alu instid0(VALU_DEP_3) | instskip(NEXT) | instid1(VALU_DEP_3)
	v_lshrrev_b32_e32 v12, 16, v15
	v_pk_fma_f16 v8, v8, 0.5, v13 op_sel_hi:[1,0,1]
	v_lshrrev_b32_e32 v16, 16, v13
	v_sub_f16_e32 v13, v15, v13
	v_lshrrev_b32_e32 v15, 16, v11
	s_delay_alu instid0(VALU_DEP_4) | instskip(SKIP_2) | instid1(VALU_DEP_4)
	v_pk_add_f16 v17, v8, v11 op_sel:[0,1] op_sel_hi:[1,0]
	v_pk_add_f16 v8, v8, v11 op_sel:[0,1] op_sel_hi:[1,0] neg_lo:[0,1] neg_hi:[0,1]
	v_sub_f16_e32 v12, v16, v12
	v_sub_f16_e32 v16, v13, v15
	s_delay_alu instid0(VALU_DEP_3) | instskip(NEXT) | instid1(VALU_DEP_3)
	v_bfi_b32 v17, 0xffff, v17, v8
	v_sub_f16_e32 v15, v12, v11
	v_dual_mov_b32 v13, v4 :: v_dual_mov_b32 v12, v3
                                        ; implicit-def: $vgpr8
.LBB0_31:
	s_wait_alu 0xfffe
	s_and_not1_saveexec_b32 s0, s1
	s_cbranch_execz .LBB0_33
; %bb.32:
	v_mov_b32_e32 v15, 0
	s_wait_dscnt 0x0
	v_lshrrev_b32_e32 v12, 16, v8
	s_wait_alu 0xfffe
	v_alignbit_b32 v11, s0, v8, 16
	s_delay_alu instid0(VALU_DEP_2) | instskip(SKIP_4) | instid1(VALU_DEP_2)
	v_sub_f16_e32 v16, v8, v12
	v_mov_b32_e32 v12, 0
	ds_load_u16 v4, v15 offset:3242
	v_pk_add_f16 v11, v11, v8
	v_mov_b32_e32 v13, 0
	v_pack_b32_f16 v17, v11, 0
	s_wait_dscnt 0x0
	v_xor_b32_e32 v4, 0x8000, v4
	ds_store_b16 v15, v4 offset:3242
.LBB0_33:
	s_wait_alu 0xfffe
	s_or_b32 exec_lo, exec_lo, s0
	s_wait_dscnt 0x0
	v_mov_b32_e32 v8, 0
	s_delay_alu instid0(VALU_DEP_1) | instskip(SKIP_1) | instid1(VALU_DEP_1)
	v_lshlrev_b64_e32 v[22:23], 2, v[7:8]
	v_mov_b32_e32 v11, v8
	v_lshlrev_b64_e32 v[10:11], 2, v[10:11]
	s_delay_alu instid0(VALU_DEP_3) | instskip(SKIP_1) | instid1(VALU_DEP_4)
	v_add_co_u32 v22, s0, s8, v22
	s_wait_alu 0xf1ff
	v_add_co_ci_u32_e64 v23, s0, s9, v23, s0
	s_delay_alu instid0(VALU_DEP_3)
	v_add_co_u32 v10, s0, s8, v10
	global_load_b32 v4, v[22:23], off offset:6440
	s_wait_alu 0xf1ff
	v_add_co_ci_u32_e64 v11, s0, s9, v11, s0
	global_load_b32 v7, v[10:11], off offset:6440
	v_mov_b32_e32 v10, v8
	s_delay_alu instid0(VALU_DEP_1) | instskip(NEXT) | instid1(VALU_DEP_1)
	v_lshlrev_b64_e32 v[9:10], 2, v[9:10]
	v_add_co_u32 v9, s0, s8, v9
	s_wait_alu 0xf1ff
	s_delay_alu instid0(VALU_DEP_2) | instskip(SKIP_4) | instid1(VALU_DEP_1)
	v_add_co_ci_u32_e64 v10, s0, s9, v10, s0
	s_add_nc_u64 s[0:1], s[8:9], 0x1928
	global_load_b32 v11, v[9:10], off offset:6440
	v_lshlrev_b64_e32 v[9:10], 2, v[12:13]
	s_wait_alu 0xfffe
	v_add_co_u32 v9, s0, s0, v9
	s_wait_alu 0xf1ff
	s_delay_alu instid0(VALU_DEP_2)
	v_add_co_ci_u32_e64 v10, s0, s1, v10, s0
	global_load_b32 v9, v[9:10], off offset:2592
	ds_store_b16 v14, v15 offset:6482
	ds_store_b32 v0, v17
	ds_store_b16 v14, v16 offset:6480
	ds_load_b32 v10, v21
	ds_load_b32 v12, v14 offset:5832
	s_wait_dscnt 0x0
	v_pk_add_f16 v13, v10, v12 neg_lo:[0,1] neg_hi:[0,1]
	v_pk_add_f16 v10, v10, v12
	s_delay_alu instid0(VALU_DEP_1) | instskip(SKIP_1) | instid1(VALU_DEP_2)
	v_bfi_b32 v12, 0xffff, v13, v10
	v_bfi_b32 v10, 0xffff, v10, v13
	v_pk_mul_f16 v12, v12, 0.5 op_sel_hi:[1,0]
	s_delay_alu instid0(VALU_DEP_2) | instskip(SKIP_1) | instid1(VALU_DEP_1)
	v_pk_mul_f16 v10, v10, 0.5 op_sel_hi:[1,0]
	s_wait_loadcnt 0x3
	v_pk_fma_f16 v13, v4, v12, v10 op_sel:[1,0,0]
	v_pk_mul_f16 v15, v4, v12 op_sel_hi:[0,1]
	v_pk_fma_f16 v16, v4, v12, v10 op_sel:[1,0,0] neg_lo:[1,0,0] neg_hi:[1,0,0]
	v_pk_fma_f16 v4, v4, v12, v10 op_sel:[1,0,0] neg_lo:[0,0,1] neg_hi:[0,0,1]
	s_delay_alu instid0(VALU_DEP_3) | instskip(SKIP_1) | instid1(VALU_DEP_4)
	v_pk_add_f16 v10, v13, v15 op_sel:[0,1] op_sel_hi:[1,0]
	v_pk_add_f16 v12, v13, v15 op_sel:[0,1] op_sel_hi:[1,0] neg_lo:[0,1] neg_hi:[0,1]
	v_pk_add_f16 v13, v16, v15 op_sel:[0,1] op_sel_hi:[1,0] neg_lo:[0,1] neg_hi:[0,1]
	s_delay_alu instid0(VALU_DEP_4) | instskip(NEXT) | instid1(VALU_DEP_3)
	v_pk_add_f16 v4, v4, v15 op_sel:[0,1] op_sel_hi:[1,0] neg_lo:[0,1] neg_hi:[0,1]
	v_bfi_b32 v10, 0xffff, v10, v12
	s_delay_alu instid0(VALU_DEP_2)
	v_bfi_b32 v4, 0xffff, v13, v4
	ds_store_b32 v21, v10
	ds_store_b32 v14, v4 offset:5832
	ds_load_b32 v4, v20
	ds_load_b32 v10, v14 offset:5184
	s_wait_dscnt 0x0
	v_pk_add_f16 v12, v4, v10 neg_lo:[0,1] neg_hi:[0,1]
	v_pk_add_f16 v4, v4, v10
	s_delay_alu instid0(VALU_DEP_1) | instskip(SKIP_1) | instid1(VALU_DEP_2)
	v_bfi_b32 v10, 0xffff, v12, v4
	v_bfi_b32 v4, 0xffff, v4, v12
	v_pk_mul_f16 v10, v10, 0.5 op_sel_hi:[1,0]
	s_delay_alu instid0(VALU_DEP_2) | instskip(SKIP_1) | instid1(VALU_DEP_2)
	v_pk_mul_f16 v4, v4, 0.5 op_sel_hi:[1,0]
	s_wait_loadcnt 0x2
	v_pk_mul_f16 v13, v7, v10 op_sel_hi:[0,1]
	s_delay_alu instid0(VALU_DEP_2) | instskip(SKIP_2) | instid1(VALU_DEP_3)
	v_pk_fma_f16 v12, v7, v10, v4 op_sel:[1,0,0]
	v_pk_fma_f16 v15, v7, v10, v4 op_sel:[1,0,0] neg_lo:[1,0,0] neg_hi:[1,0,0]
	v_pk_fma_f16 v4, v7, v10, v4 op_sel:[1,0,0] neg_lo:[0,0,1] neg_hi:[0,0,1]
	v_pk_add_f16 v7, v12, v13 op_sel:[0,1] op_sel_hi:[1,0]
	v_pk_add_f16 v10, v12, v13 op_sel:[0,1] op_sel_hi:[1,0] neg_lo:[0,1] neg_hi:[0,1]
	s_delay_alu instid0(VALU_DEP_4) | instskip(NEXT) | instid1(VALU_DEP_4)
	v_pk_add_f16 v12, v15, v13 op_sel:[0,1] op_sel_hi:[1,0] neg_lo:[0,1] neg_hi:[0,1]
	v_pk_add_f16 v4, v4, v13 op_sel:[0,1] op_sel_hi:[1,0] neg_lo:[0,1] neg_hi:[0,1]
	s_delay_alu instid0(VALU_DEP_3) | instskip(NEXT) | instid1(VALU_DEP_2)
	v_bfi_b32 v7, 0xffff, v7, v10
	v_bfi_b32 v4, 0xffff, v12, v4
	ds_store_b32 v20, v7
	ds_store_b32 v14, v4 offset:5184
	ds_load_b32 v4, v19
	ds_load_b32 v7, v14 offset:4536
	s_wait_dscnt 0x0
	v_pk_add_f16 v10, v4, v7 neg_lo:[0,1] neg_hi:[0,1]
	v_pk_add_f16 v4, v4, v7
	s_delay_alu instid0(VALU_DEP_1) | instskip(SKIP_1) | instid1(VALU_DEP_2)
	v_bfi_b32 v7, 0xffff, v10, v4
	v_bfi_b32 v4, 0xffff, v4, v10
	v_pk_mul_f16 v7, v7, 0.5 op_sel_hi:[1,0]
	s_delay_alu instid0(VALU_DEP_2) | instskip(SKIP_1) | instid1(VALU_DEP_2)
	v_pk_mul_f16 v4, v4, 0.5 op_sel_hi:[1,0]
	s_wait_loadcnt 0x1
	v_pk_mul_f16 v12, v11, v7 op_sel_hi:[0,1]
	s_delay_alu instid0(VALU_DEP_2) | instskip(SKIP_2) | instid1(VALU_DEP_3)
	v_pk_fma_f16 v10, v11, v7, v4 op_sel:[1,0,0]
	v_pk_fma_f16 v13, v11, v7, v4 op_sel:[1,0,0] neg_lo:[1,0,0] neg_hi:[1,0,0]
	v_pk_fma_f16 v4, v11, v7, v4 op_sel:[1,0,0] neg_lo:[0,0,1] neg_hi:[0,0,1]
	v_pk_add_f16 v7, v10, v12 op_sel:[0,1] op_sel_hi:[1,0]
	v_pk_add_f16 v10, v10, v12 op_sel:[0,1] op_sel_hi:[1,0] neg_lo:[0,1] neg_hi:[0,1]
	s_delay_alu instid0(VALU_DEP_4) | instskip(NEXT) | instid1(VALU_DEP_4)
	v_pk_add_f16 v11, v13, v12 op_sel:[0,1] op_sel_hi:[1,0] neg_lo:[0,1] neg_hi:[0,1]
	v_pk_add_f16 v4, v4, v12 op_sel:[0,1] op_sel_hi:[1,0] neg_lo:[0,1] neg_hi:[0,1]
	s_delay_alu instid0(VALU_DEP_3) | instskip(NEXT) | instid1(VALU_DEP_2)
	v_bfi_b32 v7, 0xffff, v7, v10
	v_bfi_b32 v4, 0xffff, v11, v4
	ds_store_b32 v19, v7
	ds_store_b32 v14, v4 offset:4536
	ds_load_b32 v4, v0 offset:2592
	ds_load_b32 v7, v14 offset:3888
	s_wait_dscnt 0x0
	v_pk_add_f16 v10, v4, v7 neg_lo:[0,1] neg_hi:[0,1]
	v_pk_add_f16 v4, v4, v7
	s_delay_alu instid0(VALU_DEP_1) | instskip(SKIP_1) | instid1(VALU_DEP_2)
	v_bfi_b32 v7, 0xffff, v10, v4
	v_bfi_b32 v4, 0xffff, v4, v10
	v_pk_mul_f16 v7, v7, 0.5 op_sel_hi:[1,0]
	s_delay_alu instid0(VALU_DEP_2) | instskip(SKIP_1) | instid1(VALU_DEP_2)
	v_pk_mul_f16 v4, v4, 0.5 op_sel_hi:[1,0]
	s_wait_loadcnt 0x0
	v_pk_mul_f16 v11, v9, v7 op_sel_hi:[0,1]
	s_delay_alu instid0(VALU_DEP_2) | instskip(SKIP_2) | instid1(VALU_DEP_3)
	v_pk_fma_f16 v10, v9, v7, v4 op_sel:[1,0,0]
	v_pk_fma_f16 v12, v9, v7, v4 op_sel:[1,0,0] neg_lo:[1,0,0] neg_hi:[1,0,0]
	v_pk_fma_f16 v4, v9, v7, v4 op_sel:[1,0,0] neg_lo:[0,0,1] neg_hi:[0,0,1]
	v_pk_add_f16 v7, v10, v11 op_sel:[0,1] op_sel_hi:[1,0]
	v_pk_add_f16 v9, v10, v11 op_sel:[0,1] op_sel_hi:[1,0] neg_lo:[0,1] neg_hi:[0,1]
	s_delay_alu instid0(VALU_DEP_4) | instskip(NEXT) | instid1(VALU_DEP_4)
	v_pk_add_f16 v10, v12, v11 op_sel:[0,1] op_sel_hi:[1,0] neg_lo:[0,1] neg_hi:[0,1]
	v_pk_add_f16 v4, v4, v11 op_sel:[0,1] op_sel_hi:[1,0] neg_lo:[0,1] neg_hi:[0,1]
	s_delay_alu instid0(VALU_DEP_3) | instskip(NEXT) | instid1(VALU_DEP_2)
	v_bfi_b32 v7, 0xffff, v7, v9
	v_bfi_b32 v4, 0xffff, v10, v4
	ds_store_b32 v0, v7 offset:2592
	ds_store_b32 v14, v4 offset:3888
	global_wb scope:SCOPE_SE
	s_wait_dscnt 0x0
	s_barrier_signal -1
	s_barrier_wait -1
	global_inv scope:SCOPE_SE
	s_and_saveexec_b32 s0, vcc_lo
	s_cbranch_execz .LBB0_36
; %bb.34:
	v_mul_lo_u32 v0, s5, v5
	v_mul_lo_u32 v4, s4, v6
	v_mad_co_u64_u32 v[5:6], null, s4, v5, 0
	v_lshl_add_u32 v31, v3, 2, 0
	v_add_nc_u32_e32 v7, 0xa2, v3
	ds_load_2addr_b32 v[9:10], v31 offset1:162
	v_add3_u32 v6, v6, v4, v0
	v_mov_b32_e32 v4, v8
	v_lshlrev_b64_e32 v[0:1], 2, v[1:2]
	v_lshlrev_b64_e32 v[13:14], 2, v[7:8]
	v_add_nc_u32_e32 v7, 0x144, v3
	v_lshlrev_b64_e32 v[5:6], 2, v[5:6]
	v_lshlrev_b64_e32 v[11:12], 2, v[3:4]
	v_add_nc_u32_e32 v2, 0x400, v31
	s_delay_alu instid0(VALU_DEP_3)
	v_add_co_u32 v15, vcc_lo, s6, v5
	v_lshlrev_b64_e32 v[4:5], 2, v[7:8]
	v_add_nc_u32_e32 v7, 0x1e6, v3
	s_wait_alu 0xfffd
	v_add_co_ci_u32_e32 v6, vcc_lo, s7, v6, vcc_lo
	v_add_co_u32 v0, vcc_lo, v15, v0
	s_delay_alu instid0(VALU_DEP_3) | instskip(SKIP_4) | instid1(VALU_DEP_3)
	v_lshlrev_b64_e32 v[17:18], 2, v[7:8]
	v_add_nc_u32_e32 v7, 0x288, v3
	s_wait_alu 0xfffd
	v_add_co_ci_u32_e32 v1, vcc_lo, v6, v1, vcc_lo
	v_add_co_u32 v11, vcc_lo, v0, v11
	v_lshlrev_b64_e32 v[19:20], 2, v[7:8]
	v_add_nc_u32_e32 v7, 0x32a, v3
	s_wait_alu 0xfffd
	v_add_co_ci_u32_e32 v12, vcc_lo, v1, v12, vcc_lo
	v_add_co_u32 v13, vcc_lo, v0, v13
	s_delay_alu instid0(VALU_DEP_3) | instskip(SKIP_4) | instid1(VALU_DEP_3)
	v_lshlrev_b64_e32 v[23:24], 2, v[7:8]
	v_add_nc_u32_e32 v7, 0x3cc, v3
	s_wait_alu 0xfffd
	v_add_co_ci_u32_e32 v14, vcc_lo, v1, v14, vcc_lo
	v_add_co_u32 v4, vcc_lo, v0, v4
	v_lshlrev_b64_e32 v[25:26], 2, v[7:8]
	v_add_nc_u32_e32 v7, 0x46e, v3
	ds_load_2addr_b32 v[15:16], v2 offset0:68 offset1:230
	s_wait_alu 0xfffd
	v_add_co_ci_u32_e32 v5, vcc_lo, v1, v5, vcc_lo
	v_add_nc_u32_e32 v2, 0xa00, v31
	v_add_co_u32 v17, vcc_lo, v0, v17
	s_wait_alu 0xfffd
	v_add_co_ci_u32_e32 v18, vcc_lo, v1, v18, vcc_lo
	v_lshlrev_b64_e32 v[29:30], 2, v[7:8]
	v_add_nc_u32_e32 v7, 0x510, v3
	v_add_co_u32 v19, vcc_lo, v0, v19
	ds_load_2addr_b32 v[21:22], v2 offset0:8 offset1:170
	v_add_nc_u32_e32 v2, 0xe00, v31
	s_wait_alu 0xfffd
	v_add_co_ci_u32_e32 v20, vcc_lo, v1, v20, vcc_lo
	v_add_co_u32 v23, vcc_lo, v0, v23
	v_lshlrev_b64_e32 v[33:34], 2, v[7:8]
	v_add_nc_u32_e32 v7, 0x5b2, v3
	s_wait_alu 0xfffd
	v_add_co_ci_u32_e32 v24, vcc_lo, v1, v24, vcc_lo
	ds_load_2addr_b32 v[27:28], v2 offset0:76 offset1:238
	v_add_nc_u32_e32 v2, 0x1400, v31
	v_add_co_u32 v25, vcc_lo, v0, v25
	s_wait_alu 0xfffd
	v_add_co_ci_u32_e32 v26, vcc_lo, v1, v26, vcc_lo
	v_add_co_u32 v29, vcc_lo, v0, v29
	v_lshlrev_b64_e32 v[6:7], 2, v[7:8]
	ds_load_2addr_b32 v[31:32], v2 offset0:16 offset1:178
	s_wait_alu 0xfffd
	v_add_co_ci_u32_e32 v30, vcc_lo, v1, v30, vcc_lo
	v_add_co_u32 v33, vcc_lo, v0, v33
	s_wait_alu 0xfffd
	v_add_co_ci_u32_e32 v34, vcc_lo, v1, v34, vcc_lo
	v_add_co_u32 v6, vcc_lo, v0, v6
	s_wait_alu 0xfffd
	v_add_co_ci_u32_e32 v7, vcc_lo, v1, v7, vcc_lo
	v_cmp_eq_u32_e32 vcc_lo, 0xa1, v3
	s_wait_dscnt 0x4
	s_clause 0x1
	global_store_b32 v[11:12], v9, off
	global_store_b32 v[13:14], v10, off
	s_wait_dscnt 0x3
	s_clause 0x1
	global_store_b32 v[4:5], v15, off
	global_store_b32 v[17:18], v16, off
	;; [unrolled: 4-line block ×5, first 2 shown]
	s_and_b32 exec_lo, exec_lo, vcc_lo
	s_cbranch_execz .LBB0_36
; %bb.35:
	v_mov_b32_e32 v2, 0
	ds_load_b32 v2, v2 offset:6480
	s_wait_dscnt 0x0
	global_store_b32 v[0:1], v2, off offset:6480
.LBB0_36:
	s_nop 0
	s_sendmsg sendmsg(MSG_DEALLOC_VGPRS)
	s_endpgm
	.section	.rodata,"a",@progbits
	.p2align	6, 0x0
	.amdhsa_kernel fft_rtc_back_len1620_factors_10_3_3_6_3_wgs_162_tpt_162_halfLds_half_op_CI_CI_unitstride_sbrr_R2C_dirReg
		.amdhsa_group_segment_fixed_size 0
		.amdhsa_private_segment_fixed_size 0
		.amdhsa_kernarg_size 104
		.amdhsa_user_sgpr_count 2
		.amdhsa_user_sgpr_dispatch_ptr 0
		.amdhsa_user_sgpr_queue_ptr 0
		.amdhsa_user_sgpr_kernarg_segment_ptr 1
		.amdhsa_user_sgpr_dispatch_id 0
		.amdhsa_user_sgpr_private_segment_size 0
		.amdhsa_wavefront_size32 1
		.amdhsa_uses_dynamic_stack 0
		.amdhsa_enable_private_segment 0
		.amdhsa_system_sgpr_workgroup_id_x 1
		.amdhsa_system_sgpr_workgroup_id_y 0
		.amdhsa_system_sgpr_workgroup_id_z 0
		.amdhsa_system_sgpr_workgroup_info 0
		.amdhsa_system_vgpr_workitem_id 0
		.amdhsa_next_free_vgpr 69
		.amdhsa_next_free_sgpr 39
		.amdhsa_reserve_vcc 1
		.amdhsa_float_round_mode_32 0
		.amdhsa_float_round_mode_16_64 0
		.amdhsa_float_denorm_mode_32 3
		.amdhsa_float_denorm_mode_16_64 3
		.amdhsa_fp16_overflow 0
		.amdhsa_workgroup_processor_mode 1
		.amdhsa_memory_ordered 1
		.amdhsa_forward_progress 0
		.amdhsa_round_robin_scheduling 0
		.amdhsa_exception_fp_ieee_invalid_op 0
		.amdhsa_exception_fp_denorm_src 0
		.amdhsa_exception_fp_ieee_div_zero 0
		.amdhsa_exception_fp_ieee_overflow 0
		.amdhsa_exception_fp_ieee_underflow 0
		.amdhsa_exception_fp_ieee_inexact 0
		.amdhsa_exception_int_div_zero 0
	.end_amdhsa_kernel
	.text
.Lfunc_end0:
	.size	fft_rtc_back_len1620_factors_10_3_3_6_3_wgs_162_tpt_162_halfLds_half_op_CI_CI_unitstride_sbrr_R2C_dirReg, .Lfunc_end0-fft_rtc_back_len1620_factors_10_3_3_6_3_wgs_162_tpt_162_halfLds_half_op_CI_CI_unitstride_sbrr_R2C_dirReg
                                        ; -- End function
	.section	.AMDGPU.csdata,"",@progbits
; Kernel info:
; codeLenInByte = 10348
; NumSgprs: 41
; NumVgprs: 69
; ScratchSize: 0
; MemoryBound: 0
; FloatMode: 240
; IeeeMode: 1
; LDSByteSize: 0 bytes/workgroup (compile time only)
; SGPRBlocks: 5
; VGPRBlocks: 8
; NumSGPRsForWavesPerEU: 41
; NumVGPRsForWavesPerEU: 69
; Occupancy: 15
; WaveLimiterHint : 1
; COMPUTE_PGM_RSRC2:SCRATCH_EN: 0
; COMPUTE_PGM_RSRC2:USER_SGPR: 2
; COMPUTE_PGM_RSRC2:TRAP_HANDLER: 0
; COMPUTE_PGM_RSRC2:TGID_X_EN: 1
; COMPUTE_PGM_RSRC2:TGID_Y_EN: 0
; COMPUTE_PGM_RSRC2:TGID_Z_EN: 0
; COMPUTE_PGM_RSRC2:TIDIG_COMP_CNT: 0
	.text
	.p2alignl 7, 3214868480
	.fill 96, 4, 3214868480
	.type	__hip_cuid_5719c45f0574eed8,@object ; @__hip_cuid_5719c45f0574eed8
	.section	.bss,"aw",@nobits
	.globl	__hip_cuid_5719c45f0574eed8
__hip_cuid_5719c45f0574eed8:
	.byte	0                               ; 0x0
	.size	__hip_cuid_5719c45f0574eed8, 1

	.ident	"AMD clang version 19.0.0git (https://github.com/RadeonOpenCompute/llvm-project roc-6.4.0 25133 c7fe45cf4b819c5991fe208aaa96edf142730f1d)"
	.section	".note.GNU-stack","",@progbits
	.addrsig
	.addrsig_sym __hip_cuid_5719c45f0574eed8
	.amdgpu_metadata
---
amdhsa.kernels:
  - .args:
      - .actual_access:  read_only
        .address_space:  global
        .offset:         0
        .size:           8
        .value_kind:     global_buffer
      - .offset:         8
        .size:           8
        .value_kind:     by_value
      - .actual_access:  read_only
        .address_space:  global
        .offset:         16
        .size:           8
        .value_kind:     global_buffer
      - .actual_access:  read_only
        .address_space:  global
        .offset:         24
        .size:           8
        .value_kind:     global_buffer
      - .actual_access:  read_only
        .address_space:  global
        .offset:         32
        .size:           8
        .value_kind:     global_buffer
      - .offset:         40
        .size:           8
        .value_kind:     by_value
      - .actual_access:  read_only
        .address_space:  global
        .offset:         48
        .size:           8
        .value_kind:     global_buffer
      - .actual_access:  read_only
        .address_space:  global
        .offset:         56
        .size:           8
        .value_kind:     global_buffer
      - .offset:         64
        .size:           4
        .value_kind:     by_value
      - .actual_access:  read_only
        .address_space:  global
        .offset:         72
        .size:           8
        .value_kind:     global_buffer
      - .actual_access:  read_only
        .address_space:  global
        .offset:         80
        .size:           8
        .value_kind:     global_buffer
      - .actual_access:  read_only
        .address_space:  global
        .offset:         88
        .size:           8
        .value_kind:     global_buffer
      - .actual_access:  write_only
        .address_space:  global
        .offset:         96
        .size:           8
        .value_kind:     global_buffer
    .group_segment_fixed_size: 0
    .kernarg_segment_align: 8
    .kernarg_segment_size: 104
    .language:       OpenCL C
    .language_version:
      - 2
      - 0
    .max_flat_workgroup_size: 162
    .name:           fft_rtc_back_len1620_factors_10_3_3_6_3_wgs_162_tpt_162_halfLds_half_op_CI_CI_unitstride_sbrr_R2C_dirReg
    .private_segment_fixed_size: 0
    .sgpr_count:     41
    .sgpr_spill_count: 0
    .symbol:         fft_rtc_back_len1620_factors_10_3_3_6_3_wgs_162_tpt_162_halfLds_half_op_CI_CI_unitstride_sbrr_R2C_dirReg.kd
    .uniform_work_group_size: 1
    .uses_dynamic_stack: false
    .vgpr_count:     69
    .vgpr_spill_count: 0
    .wavefront_size: 32
    .workgroup_processor_mode: 1
amdhsa.target:   amdgcn-amd-amdhsa--gfx1201
amdhsa.version:
  - 1
  - 2
...

	.end_amdgpu_metadata
